;; amdgpu-corpus repo=ROCm/rocFFT kind=compiled arch=gfx1100 opt=O3
	.text
	.amdgcn_target "amdgcn-amd-amdhsa--gfx1100"
	.amdhsa_code_object_version 6
	.protected	fft_rtc_fwd_len289_factors_17_17_wgs_119_tpt_17_dp_ip_CI_sbcc_twdbase8_2step_dirReg ; -- Begin function fft_rtc_fwd_len289_factors_17_17_wgs_119_tpt_17_dp_ip_CI_sbcc_twdbase8_2step_dirReg
	.globl	fft_rtc_fwd_len289_factors_17_17_wgs_119_tpt_17_dp_ip_CI_sbcc_twdbase8_2step_dirReg
	.p2align	8
	.type	fft_rtc_fwd_len289_factors_17_17_wgs_119_tpt_17_dp_ip_CI_sbcc_twdbase8_2step_dirReg,@function
fft_rtc_fwd_len289_factors_17_17_wgs_119_tpt_17_dp_ip_CI_sbcc_twdbase8_2step_dirReg: ; @fft_rtc_fwd_len289_factors_17_17_wgs_119_tpt_17_dp_ip_CI_sbcc_twdbase8_2step_dirReg
; %bb.0:
	s_mov_b32 s2, s15
	s_load_b128 s[12:15], s[0:1], 0x18
	v_mov_b32_e32 v2, v0
	s_mov_b64 s[20:21], 0
	s_waitcnt lgkmcnt(0)
	s_load_b64 s[16:17], s[12:13], 0x8
	s_waitcnt lgkmcnt(0)
	s_add_u32 s3, s16, -1
	s_addc_u32 s4, s17, -1
	s_add_u32 s5, 0, 0x92481000
	s_addc_u32 s6, 0, 0x64
	s_mul_hi_u32 s8, s5, -7
	s_add_i32 s6, s6, 0x249248c0
	s_sub_i32 s8, s8, s5
	s_mul_i32 s10, s6, -7
	s_mul_i32 s7, s5, -7
	s_add_i32 s8, s8, s10
	s_mul_hi_u32 s9, s5, s7
	s_mul_i32 s18, s5, s8
	s_mul_hi_u32 s10, s5, s8
	s_mul_hi_u32 s11, s6, s7
	s_mul_i32 s7, s6, s7
	s_add_u32 s9, s9, s18
	s_addc_u32 s10, 0, s10
	s_mul_hi_u32 s19, s6, s8
	s_add_u32 s7, s9, s7
	s_mul_i32 s8, s6, s8
	s_addc_u32 s7, s10, s11
	s_addc_u32 s9, s19, 0
	s_add_u32 s7, s7, s8
	s_delay_alu instid0(SALU_CYCLE_1) | instskip(SKIP_3) | instid1(VALU_DEP_1)
	v_add_co_u32 v0, s5, s5, s7
	s_addc_u32 s7, 0, s9
	s_cmp_lg_u32 s5, 0
	s_addc_u32 s5, s6, s7
	v_readfirstlane_b32 s6, v0
	s_mul_i32 s8, s3, s5
	s_mul_hi_u32 s7, s3, s5
	s_mul_hi_u32 s9, s4, s5
	s_mul_i32 s5, s4, s5
	s_mul_hi_u32 s10, s3, s6
	s_mul_hi_u32 s11, s4, s6
	s_mul_i32 s6, s4, s6
	s_add_u32 s8, s10, s8
	s_addc_u32 s7, 0, s7
	s_add_u32 s6, s8, s6
	s_addc_u32 s6, s7, s11
	s_addc_u32 s7, s9, 0
	s_add_u32 s5, s6, s5
	s_addc_u32 s6, 0, s7
	s_mul_i32 s8, s5, 7
	s_add_u32 s7, s5, 1
	v_sub_co_u32 v0, s3, s3, s8
	s_mul_hi_u32 s8, s5, 7
	s_addc_u32 s9, s6, 0
	s_mul_i32 s10, s6, 7
	s_delay_alu instid0(VALU_DEP_1)
	v_sub_co_u32 v1, s11, v0, 7
	s_add_u32 s18, s5, 2
	s_addc_u32 s19, s6, 0
	s_add_i32 s8, s8, s10
	s_cmp_lg_u32 s3, 0
	v_readfirstlane_b32 s3, v1
	s_subb_u32 s4, s4, s8
	s_cmp_lg_u32 s11, 0
	s_subb_u32 s8, s4, 0
	s_delay_alu instid0(VALU_DEP_1) | instskip(SKIP_4) | instid1(SALU_CYCLE_1)
	s_cmp_gt_u32 s3, 6
	s_cselect_b32 s3, -1, 0
	s_cmp_eq_u32 s8, 0
	v_readfirstlane_b32 s8, v0
	s_cselect_b32 s3, s3, -1
	s_cmp_lg_u32 s3, 0
	s_cselect_b32 s7, s18, s7
	s_cselect_b32 s9, s19, s9
	s_cmp_gt_u32 s8, 6
	s_cselect_b32 s3, -1, 0
	s_cmp_eq_u32 s4, 0
	s_cselect_b32 s3, s3, -1
	s_delay_alu instid0(SALU_CYCLE_1)
	s_cmp_lg_u32 s3, 0
	s_mov_b32 s3, 0
	s_cselect_b32 s4, s7, s5
	s_cselect_b32 s5, s9, s6
	s_add_u32 s18, s4, 1
	s_addc_u32 s19, s5, 0
	s_delay_alu instid0(SALU_CYCLE_1) | instskip(NEXT) | instid1(VALU_DEP_1)
	v_cmp_lt_u64_e64 s4, s[2:3], s[18:19]
	s_and_b32 vcc_lo, exec_lo, s4
	s_cbranch_vccnz .LBB0_2
; %bb.1:
	v_cvt_f32_u32_e32 v0, s18
	s_sub_i32 s5, 0, s18
	s_mov_b32 s21, s3
	s_delay_alu instid0(VALU_DEP_1) | instskip(SKIP_2) | instid1(VALU_DEP_1)
	v_rcp_iflag_f32_e32 v0, v0
	s_waitcnt_depctr 0xfff
	v_mul_f32_e32 v0, 0x4f7ffffe, v0
	v_cvt_u32_f32_e32 v0, v0
	s_delay_alu instid0(VALU_DEP_1) | instskip(NEXT) | instid1(VALU_DEP_1)
	v_readfirstlane_b32 s4, v0
	s_mul_i32 s5, s5, s4
	s_delay_alu instid0(SALU_CYCLE_1) | instskip(NEXT) | instid1(SALU_CYCLE_1)
	s_mul_hi_u32 s5, s4, s5
	s_add_i32 s4, s4, s5
	s_delay_alu instid0(SALU_CYCLE_1) | instskip(NEXT) | instid1(SALU_CYCLE_1)
	s_mul_hi_u32 s4, s2, s4
	s_mul_i32 s5, s4, s18
	s_add_i32 s6, s4, 1
	s_sub_i32 s5, s2, s5
	s_delay_alu instid0(SALU_CYCLE_1)
	s_sub_i32 s7, s5, s18
	s_cmp_ge_u32 s5, s18
	s_cselect_b32 s4, s6, s4
	s_cselect_b32 s5, s7, s5
	s_add_i32 s6, s4, 1
	s_cmp_ge_u32 s5, s18
	s_cselect_b32 s20, s6, s4
.LBB0_2:
	s_load_b128 s[4:7], s[14:15], 0x0
	s_clause 0x2
	s_load_b128 s[8:11], s[0:1], 0x8
	s_load_b64 s[48:49], s[0:1], 0x0
	s_load_b64 s[0:1], s[0:1], 0x58
	s_mul_i32 s22, s20, s19
	s_mul_hi_u32 s23, s20, s18
	s_mul_i32 s24, s20, s18
	s_add_i32 s23, s23, s22
	s_sub_u32 s34, s2, s24
	s_subb_u32 s22, 0, s23
	s_mul_hi_u32 s33, s34, 7
	s_mul_i32 s22, s22, 7
	s_mul_i32 s34, s34, 7
	s_add_i32 s33, s33, s22
	s_waitcnt lgkmcnt(0)
	s_mul_i32 s22, s6, s33
	v_cmp_lt_u64_e64 s24, s[10:11], 3
	s_mul_hi_u32 s23, s6, s34
	s_mul_i32 s36, s6, s34
	s_add_i32 s22, s23, s22
	s_mul_i32 s23, s7, s34
	s_delay_alu instid0(SALU_CYCLE_1)
	s_add_i32 s35, s22, s23
	s_and_b32 vcc_lo, exec_lo, s24
	s_cbranch_vccnz .LBB0_12
; %bb.3:
	s_add_u32 s22, s14, 16
	s_addc_u32 s23, s15, 0
	s_add_u32 s12, s12, 16
	s_addc_u32 s13, s13, 0
	s_mov_b64 s[24:25], 2
	s_mov_b32 s26, 0
.LBB0_4:                                ; =>This Inner Loop Header: Depth=1
	s_load_b64 s[28:29], s[12:13], 0x0
	s_waitcnt lgkmcnt(0)
	s_or_b64 s[30:31], s[20:21], s[28:29]
	s_delay_alu instid0(SALU_CYCLE_1) | instskip(NEXT) | instid1(SALU_CYCLE_1)
	s_mov_b32 s27, s31
                                        ; implicit-def: $sgpr30_sgpr31
	s_cmp_lg_u64 s[26:27], 0
	s_mov_b32 s27, -1
	s_cbranch_scc0 .LBB0_6
; %bb.5:                                ;   in Loop: Header=BB0_4 Depth=1
	v_cvt_f32_u32_e32 v0, s28
	v_cvt_f32_u32_e32 v1, s29
	s_sub_u32 s31, 0, s28
	s_subb_u32 s37, 0, s29
	s_delay_alu instid0(VALU_DEP_1) | instskip(NEXT) | instid1(VALU_DEP_1)
	v_fmac_f32_e32 v0, 0x4f800000, v1
	v_rcp_f32_e32 v0, v0
	s_waitcnt_depctr 0xfff
	v_mul_f32_e32 v0, 0x5f7ffffc, v0
	s_delay_alu instid0(VALU_DEP_1) | instskip(NEXT) | instid1(VALU_DEP_1)
	v_mul_f32_e32 v1, 0x2f800000, v0
	v_trunc_f32_e32 v1, v1
	s_delay_alu instid0(VALU_DEP_1) | instskip(SKIP_1) | instid1(VALU_DEP_2)
	v_fmac_f32_e32 v0, 0xcf800000, v1
	v_cvt_u32_f32_e32 v1, v1
	v_cvt_u32_f32_e32 v0, v0
	s_delay_alu instid0(VALU_DEP_2) | instskip(NEXT) | instid1(VALU_DEP_2)
	v_readfirstlane_b32 s27, v1
	v_readfirstlane_b32 s30, v0
	s_delay_alu instid0(VALU_DEP_2) | instskip(NEXT) | instid1(VALU_DEP_1)
	s_mul_i32 s38, s31, s27
	s_mul_hi_u32 s40, s31, s30
	s_mul_i32 s39, s37, s30
	s_add_i32 s38, s40, s38
	s_mul_i32 s41, s31, s30
	s_add_i32 s38, s38, s39
	s_mul_hi_u32 s40, s30, s41
	s_mul_hi_u32 s42, s27, s41
	s_mul_i32 s39, s27, s41
	s_mul_hi_u32 s41, s30, s38
	s_mul_i32 s30, s30, s38
	s_mul_hi_u32 s43, s27, s38
	s_add_u32 s30, s40, s30
	s_addc_u32 s40, 0, s41
	s_add_u32 s30, s30, s39
	s_mul_i32 s38, s27, s38
	s_addc_u32 s30, s40, s42
	s_addc_u32 s39, s43, 0
	s_add_u32 s30, s30, s38
	s_addc_u32 s38, 0, s39
	v_add_co_u32 v0, s30, v0, s30
	s_delay_alu instid0(VALU_DEP_1) | instskip(SKIP_1) | instid1(VALU_DEP_1)
	s_cmp_lg_u32 s30, 0
	s_addc_u32 s27, s27, s38
	v_readfirstlane_b32 s30, v0
	s_mul_i32 s38, s31, s27
	s_delay_alu instid0(VALU_DEP_1)
	s_mul_hi_u32 s39, s31, s30
	s_mul_i32 s37, s37, s30
	s_add_i32 s38, s39, s38
	s_mul_i32 s31, s31, s30
	s_add_i32 s38, s38, s37
	s_mul_hi_u32 s39, s27, s31
	s_mul_i32 s40, s27, s31
	s_mul_hi_u32 s31, s30, s31
	s_mul_hi_u32 s41, s30, s38
	s_mul_i32 s30, s30, s38
	s_mul_hi_u32 s37, s27, s38
	s_add_u32 s30, s31, s30
	s_addc_u32 s31, 0, s41
	s_add_u32 s30, s30, s40
	s_mul_i32 s38, s27, s38
	s_addc_u32 s30, s31, s39
	s_addc_u32 s31, s37, 0
	s_add_u32 s30, s30, s38
	s_addc_u32 s31, 0, s31
	v_add_co_u32 v0, s30, v0, s30
	s_delay_alu instid0(VALU_DEP_1) | instskip(SKIP_1) | instid1(VALU_DEP_1)
	s_cmp_lg_u32 s30, 0
	s_addc_u32 s27, s27, s31
	v_readfirstlane_b32 s30, v0
	s_mul_i32 s37, s20, s27
	s_mul_hi_u32 s31, s20, s27
	s_mul_hi_u32 s38, s21, s27
	s_mul_i32 s27, s21, s27
	s_mul_hi_u32 s39, s20, s30
	s_mul_hi_u32 s40, s21, s30
	s_mul_i32 s30, s21, s30
	s_add_u32 s37, s39, s37
	s_addc_u32 s31, 0, s31
	s_add_u32 s30, s37, s30
	s_addc_u32 s30, s31, s40
	s_addc_u32 s31, s38, 0
	s_add_u32 s30, s30, s27
	s_addc_u32 s31, 0, s31
	s_mul_hi_u32 s27, s28, s30
	s_mul_i32 s38, s28, s31
	s_mul_i32 s39, s28, s30
	s_add_i32 s27, s27, s38
	v_sub_co_u32 v0, s38, s20, s39
	s_mul_i32 s37, s29, s30
	s_delay_alu instid0(SALU_CYCLE_1) | instskip(NEXT) | instid1(VALU_DEP_1)
	s_add_i32 s27, s27, s37
	v_sub_co_u32 v1, s39, v0, s28
	s_sub_i32 s37, s21, s27
	s_cmp_lg_u32 s38, 0
	s_subb_u32 s37, s37, s29
	s_cmp_lg_u32 s39, 0
	v_readfirstlane_b32 s39, v1
	s_subb_u32 s37, s37, 0
	s_delay_alu instid0(SALU_CYCLE_1) | instskip(SKIP_1) | instid1(VALU_DEP_1)
	s_cmp_ge_u32 s37, s29
	s_cselect_b32 s40, -1, 0
	s_cmp_ge_u32 s39, s28
	s_cselect_b32 s39, -1, 0
	s_cmp_eq_u32 s37, s29
	s_cselect_b32 s37, s39, s40
	s_add_u32 s39, s30, 1
	s_addc_u32 s40, s31, 0
	s_add_u32 s41, s30, 2
	s_addc_u32 s42, s31, 0
	s_cmp_lg_u32 s37, 0
	s_cselect_b32 s37, s41, s39
	s_cselect_b32 s39, s42, s40
	s_cmp_lg_u32 s38, 0
	v_readfirstlane_b32 s38, v0
	s_subb_u32 s27, s21, s27
	s_delay_alu instid0(SALU_CYCLE_1) | instskip(SKIP_1) | instid1(VALU_DEP_1)
	s_cmp_ge_u32 s27, s29
	s_cselect_b32 s40, -1, 0
	s_cmp_ge_u32 s38, s28
	s_cselect_b32 s38, -1, 0
	s_cmp_eq_u32 s27, s29
	s_cselect_b32 s27, s38, s40
	s_delay_alu instid0(SALU_CYCLE_1)
	s_cmp_lg_u32 s27, 0
	s_mov_b32 s27, 0
	s_cselect_b32 s31, s39, s31
	s_cselect_b32 s30, s37, s30
.LBB0_6:                                ;   in Loop: Header=BB0_4 Depth=1
	s_and_not1_b32 vcc_lo, exec_lo, s27
	s_cbranch_vccnz .LBB0_8
; %bb.7:                                ;   in Loop: Header=BB0_4 Depth=1
	v_cvt_f32_u32_e32 v0, s28
	s_sub_i32 s30, 0, s28
	s_waitcnt_depctr 0xfff
	v_rcp_iflag_f32_e32 v0, v0
	s_waitcnt_depctr 0xfff
	v_mul_f32_e32 v0, 0x4f7ffffe, v0
	s_delay_alu instid0(VALU_DEP_1) | instskip(NEXT) | instid1(VALU_DEP_1)
	v_cvt_u32_f32_e32 v0, v0
	v_readfirstlane_b32 s27, v0
	s_delay_alu instid0(VALU_DEP_1) | instskip(NEXT) | instid1(SALU_CYCLE_1)
	s_mul_i32 s30, s30, s27
	s_mul_hi_u32 s30, s27, s30
	s_delay_alu instid0(SALU_CYCLE_1) | instskip(NEXT) | instid1(SALU_CYCLE_1)
	s_add_i32 s27, s27, s30
	s_mul_hi_u32 s27, s20, s27
	s_delay_alu instid0(SALU_CYCLE_1) | instskip(SKIP_2) | instid1(SALU_CYCLE_1)
	s_mul_i32 s30, s27, s28
	s_add_i32 s31, s27, 1
	s_sub_i32 s30, s20, s30
	s_sub_i32 s37, s30, s28
	s_cmp_ge_u32 s30, s28
	s_cselect_b32 s27, s31, s27
	s_cselect_b32 s30, s37, s30
	s_add_i32 s31, s27, 1
	s_cmp_ge_u32 s30, s28
	s_cselect_b32 s30, s31, s27
	s_mov_b32 s31, s26
.LBB0_8:                                ;   in Loop: Header=BB0_4 Depth=1
	s_load_b64 s[38:39], s[22:23], 0x0
	s_mul_i32 s19, s28, s19
	s_mul_hi_u32 s27, s28, s18
	s_mul_i32 s37, s29, s18
	s_mul_i32 s29, s30, s29
	s_mul_hi_u32 s40, s30, s28
	s_mul_i32 s41, s31, s28
	s_add_i32 s19, s27, s19
	s_add_i32 s27, s40, s29
	s_mul_i32 s42, s30, s28
	s_add_i32 s19, s19, s37
	s_add_i32 s27, s27, s41
	s_sub_u32 s20, s20, s42
	s_subb_u32 s21, s21, s27
	s_mul_i32 s18, s28, s18
	s_waitcnt lgkmcnt(0)
	s_mul_i32 s21, s38, s21
	s_mul_hi_u32 s27, s38, s20
	s_delay_alu instid0(SALU_CYCLE_1)
	s_add_i32 s21, s27, s21
	s_mul_i32 s27, s39, s20
	s_mul_i32 s20, s38, s20
	s_add_i32 s21, s21, s27
	s_add_u32 s36, s20, s36
	s_addc_u32 s35, s21, s35
	s_add_u32 s24, s24, 1
	s_addc_u32 s25, s25, 0
	s_add_u32 s22, s22, 8
	v_cmp_ge_u64_e64 s20, s[24:25], s[10:11]
	s_addc_u32 s23, s23, 0
	s_add_u32 s12, s12, 8
	s_addc_u32 s13, s13, 0
	s_delay_alu instid0(VALU_DEP_1)
	s_and_b32 vcc_lo, exec_lo, s20
	s_cbranch_vccnz .LBB0_10
; %bb.9:                                ;   in Loop: Header=BB0_4 Depth=1
	s_mov_b64 s[20:21], s[30:31]
	s_branch .LBB0_4
.LBB0_10:
	v_cmp_lt_u64_e64 s3, s[2:3], s[18:19]
	s_mov_b64 s[20:21], 0
	s_delay_alu instid0(VALU_DEP_1)
	s_and_b32 vcc_lo, exec_lo, s3
	s_cbranch_vccnz .LBB0_12
; %bb.11:
	v_cvt_f32_u32_e32 v0, s18
	s_sub_i32 s12, 0, s18
	s_delay_alu instid0(VALU_DEP_1) | instskip(SKIP_2) | instid1(VALU_DEP_1)
	v_rcp_iflag_f32_e32 v0, v0
	s_waitcnt_depctr 0xfff
	v_mul_f32_e32 v0, 0x4f7ffffe, v0
	v_cvt_u32_f32_e32 v0, v0
	s_delay_alu instid0(VALU_DEP_1) | instskip(NEXT) | instid1(VALU_DEP_1)
	v_readfirstlane_b32 s3, v0
	s_mul_i32 s12, s12, s3
	s_delay_alu instid0(SALU_CYCLE_1) | instskip(NEXT) | instid1(SALU_CYCLE_1)
	s_mul_hi_u32 s12, s3, s12
	s_add_i32 s3, s3, s12
	s_delay_alu instid0(SALU_CYCLE_1) | instskip(NEXT) | instid1(SALU_CYCLE_1)
	s_mul_hi_u32 s3, s2, s3
	s_mul_i32 s12, s3, s18
	s_delay_alu instid0(SALU_CYCLE_1)
	s_sub_i32 s2, s2, s12
	s_add_i32 s12, s3, 1
	s_sub_i32 s13, s2, s18
	s_cmp_ge_u32 s2, s18
	s_cselect_b32 s3, s12, s3
	s_cselect_b32 s2, s13, s2
	s_add_i32 s12, s3, 1
	s_cmp_ge_u32 s2, s18
	s_cselect_b32 s20, s12, s3
.LBB0_12:
	s_lshl_b64 s[2:3], s[10:11], 3
	v_mul_u32_u24_e32 v0, 0x2493, v2
	s_add_u32 s2, s14, s2
	s_addc_u32 s3, s15, s3
                                        ; implicit-def: $vgpr43_vgpr44
                                        ; implicit-def: $vgpr47_vgpr48
                                        ; implicit-def: $vgpr55_vgpr56
                                        ; implicit-def: $vgpr63_vgpr64
                                        ; implicit-def: $vgpr67_vgpr68
                                        ; implicit-def: $vgpr51_vgpr52
                                        ; implicit-def: $vgpr59_vgpr60
                                        ; implicit-def: $vgpr35_vgpr36
                                        ; implicit-def: $vgpr39_vgpr40
                                        ; implicit-def: $vgpr31_vgpr32
                                        ; implicit-def: $vgpr27_vgpr28
                                        ; implicit-def: $vgpr23_vgpr24
                                        ; implicit-def: $vgpr19_vgpr20
                                        ; implicit-def: $vgpr15_vgpr16
                                        ; implicit-def: $vgpr11_vgpr12
                                        ; implicit-def: $vgpr7_vgpr8
                                        ; implicit-def: $vgpr3_vgpr4
	s_load_b64 s[2:3], s[2:3], 0x0
	s_delay_alu instid0(VALU_DEP_1) | instskip(NEXT) | instid1(VALU_DEP_1)
	v_lshrrev_b32_e32 v186, 16, v0
	v_mul_lo_u16 v0, v186, 7
	s_delay_alu instid0(VALU_DEP_1) | instskip(NEXT) | instid1(VALU_DEP_1)
	v_sub_nc_u16 v0, v2, v0
	v_and_b32_e32 v0, 0xffff, v0
	scratch_store_b32 off, v2, off offset:180 ; 4-byte Folded Spill
                                        ; kill: def $vgpr1_vgpr2 killed $sgpr0_sgpr1 killed $exec
	s_waitcnt lgkmcnt(0)
	s_mul_i32 s3, s3, s20
	scratch_store_b32 off, v0, off          ; 4-byte Folded Spill
	s_mul_hi_u32 s10, s2, s20
	s_mul_i32 s2, s2, s20
	v_add_co_u32 v113, s11, s34, v0
	s_add_i32 s10, s10, s3
	v_add_co_ci_u32_e64 v114, null, s33, 0, s11
	s_add_u32 s2, s2, s36
	s_addc_u32 s3, s10, s35
	s_add_u32 s10, s34, 7
	s_addc_u32 s11, s33, 0
	v_cmp_gt_u64_e32 vcc_lo, s[16:17], v[113:114]
	v_cmp_le_u64_e64 s10, s[10:11], s[16:17]
	s_delay_alu instid0(VALU_DEP_1) | instskip(NEXT) | instid1(SALU_CYCLE_1)
	s_or_b32 s33, s10, vcc_lo
	s_and_saveexec_b32 s10, s33
	s_cbranch_execz .LBB0_14
; %bb.13:
	scratch_load_b32 v9, off, off           ; 4-byte Folded Reload
	v_mad_u64_u32 v[3:4], null, s4, v186, 0
	v_add_nc_u32_e32 v0, 17, v186
	s_lshl_b64 s[12:13], s[2:3], 4
	v_add_nc_u32_e32 v20, 0x44, v186
	s_add_u32 s11, s0, s12
	s_addc_u32 s12, s1, s13
	v_mad_u64_u32 v[5:6], null, s4, v0, 0
	v_add_nc_u32_e32 v13, 34, v186
	v_add_nc_u32_e32 v32, 0x88, v186
	;; [unrolled: 1-line block ×6, first 2 shown]
	v_mad_u64_u32 v[33:34], null, s4, v32, 0
	v_mad_u64_u32 v[41:42], null, s4, v46, 0
	s_delay_alu instid0(VALU_DEP_4)
	v_mad_u64_u32 v[37:38], null, s4, v45, 0
	v_mad_u64_u32 v[55:56], null, s4, v50, 0
	;; [unrolled: 1-line block ×3, first 2 shown]
	v_add_nc_u32_e32 v67, 0x110, v186
	s_waitcnt vmcnt(0)
	v_mad_u64_u32 v[1:2], null, s6, v9, 0
	s_delay_alu instid0(VALU_DEP_1) | instskip(SKIP_3) | instid1(VALU_DEP_4)
	v_mad_u64_u32 v[7:8], null, s7, v9, v[2:3]
	v_mad_u64_u32 v[8:9], null, s5, v186, v[4:5]
	v_mov_b32_e32 v4, v6
	v_mad_u64_u32 v[9:10], null, s4, v13, 0
	v_mov_b32_e32 v2, v7
	s_delay_alu instid0(VALU_DEP_3) | instskip(SKIP_2) | instid1(VALU_DEP_4)
	v_mad_u64_u32 v[6:7], null, s5, v0, v[4:5]
	v_mov_b32_e32 v4, v8
	v_add_nc_u32_e32 v0, 51, v186
	v_lshlrev_b64 v[1:2], 4, v[1:2]
	v_mov_b32_e32 v7, v10
	s_delay_alu instid0(VALU_DEP_4) | instskip(NEXT) | instid1(VALU_DEP_4)
	v_lshlrev_b64 v[3:4], 4, v[3:4]
	v_mad_u64_u32 v[11:12], null, s4, v0, 0
	s_delay_alu instid0(VALU_DEP_4) | instskip(SKIP_2) | instid1(VALU_DEP_3)
	v_add_co_u32 v65, vcc_lo, s11, v1
	v_add_co_ci_u32_e32 v66, vcc_lo, s12, v2, vcc_lo
	v_lshlrev_b64 v[1:2], 4, v[5:6]
	v_add_co_u32 v3, vcc_lo, v65, v3
	s_delay_alu instid0(VALU_DEP_3) | instskip(SKIP_1) | instid1(VALU_DEP_4)
	v_add_co_ci_u32_e32 v4, vcc_lo, v66, v4, vcc_lo
	v_mad_u64_u32 v[5:6], null, s5, v13, v[7:8]
	v_add_co_u32 v6, vcc_lo, v65, v1
	v_mov_b32_e32 v1, v12
	v_mad_u64_u32 v[13:14], null, s4, v20, 0
	v_add_co_ci_u32_e32 v7, vcc_lo, v66, v2, vcc_lo
	s_delay_alu instid0(VALU_DEP_3)
	v_mad_u64_u32 v[15:16], null, s5, v0, v[1:2]
	v_add_nc_u32_e32 v0, 0x55, v186
	v_mov_b32_e32 v10, v5
	s_clause 0x1
	global_load_b128 v[1:4], v[3:4], off
	global_load_b128 v[5:8], v[6:7], off
	v_mad_u64_u32 v[16:17], null, s4, v0, 0
	v_mad_u64_u32 v[18:19], null, s5, v20, v[14:15]
	v_mov_b32_e32 v12, v15
	v_add_nc_u32_e32 v20, 0x66, v186
	v_lshlrev_b64 v[9:10], 4, v[9:10]
	v_mov_b32_e32 v15, v17
	s_delay_alu instid0(VALU_DEP_4) | instskip(SKIP_2) | instid1(VALU_DEP_4)
	v_lshlrev_b64 v[11:12], 4, v[11:12]
	v_mov_b32_e32 v14, v18
	v_mad_u64_u32 v[25:26], null, s4, v20, 0
	v_mad_u64_u32 v[17:18], null, s5, v0, v[15:16]
	v_add_nc_u32_e32 v0, 0x77, v186
	v_add_co_u32 v9, vcc_lo, v65, v9
	v_add_co_ci_u32_e32 v10, vcc_lo, v66, v10, vcc_lo
	v_add_co_u32 v18, vcc_lo, v65, v11
	s_delay_alu instid0(VALU_DEP_4) | instskip(SKIP_4) | instid1(VALU_DEP_1)
	v_mad_u64_u32 v[27:28], null, s4, v0, 0
	v_add_co_ci_u32_e32 v19, vcc_lo, v66, v12, vcc_lo
	v_lshlrev_b64 v[11:12], 4, v[13:14]
	v_lshlrev_b64 v[14:15], 4, v[16:17]
	v_mov_b32_e32 v13, v26
	v_mad_u64_u32 v[16:17], null, s5, v20, v[13:14]
	s_delay_alu instid0(VALU_DEP_4) | instskip(SKIP_3) | instid1(VALU_DEP_3)
	v_add_co_u32 v20, vcc_lo, v65, v11
	v_mov_b32_e32 v11, v28
	v_add_co_ci_u32_e32 v21, vcc_lo, v66, v12, vcc_lo
	v_add_co_u32 v22, vcc_lo, v65, v14
	v_mad_u64_u32 v[28:29], null, s5, v0, v[11:12]
	v_dual_mov_b32 v29, v34 :: v_dual_add_nc_u32 v0, 0x99, v186
	v_mov_b32_e32 v26, v16
	v_add_co_ci_u32_e32 v23, vcc_lo, v66, v15, vcc_lo
	s_delay_alu instid0(VALU_DEP_3) | instskip(NEXT) | instid1(VALU_DEP_4)
	v_mad_u64_u32 v[35:36], null, s4, v0, 0
	v_mad_u64_u32 v[30:31], null, s5, v32, v[29:30]
	s_delay_alu instid0(VALU_DEP_4)
	v_lshlrev_b64 v[25:26], 4, v[25:26]
	v_lshlrev_b64 v[27:28], 4, v[27:28]
	s_clause 0x3
	global_load_b128 v[9:12], v[9:10], off
	global_load_b128 v[13:16], v[18:19], off
	;; [unrolled: 1-line block ×4, first 2 shown]
	v_dual_mov_b32 v29, v36 :: v_dual_mov_b32 v36, v38
	v_mov_b32_e32 v34, v30
	v_add_co_u32 v25, vcc_lo, v65, v25
	s_delay_alu instid0(VALU_DEP_3) | instskip(NEXT) | instid1(VALU_DEP_4)
	v_mad_u64_u32 v[39:40], null, s5, v0, v[29:30]
	v_mad_u64_u32 v[43:44], null, s5, v45, v[36:37]
	v_add_nc_u32_e32 v0, 0xcc, v186
	v_lshlrev_b64 v[33:34], 4, v[33:34]
	v_add_co_ci_u32_e32 v26, vcc_lo, v66, v26, vcc_lo
	v_dual_mov_b32 v36, v39 :: v_dual_mov_b32 v39, v42
	v_mov_b32_e32 v38, v43
	v_add_co_u32 v31, vcc_lo, v65, v27
	s_delay_alu instid0(VALU_DEP_3) | instskip(NEXT) | instid1(VALU_DEP_4)
	v_lshlrev_b64 v[35:36], 4, v[35:36]
	v_mad_u64_u32 v[42:43], null, s5, v46, v[39:40]
	v_mad_u64_u32 v[45:46], null, s4, v0, 0
	v_add_co_ci_u32_e32 v32, vcc_lo, v66, v28, vcc_lo
	v_add_co_u32 v33, vcc_lo, v65, v33
	v_lshlrev_b64 v[43:44], 4, v[37:38]
	v_add_co_ci_u32_e32 v34, vcc_lo, v66, v34, vcc_lo
	v_mad_u64_u32 v[47:48], null, s5, v0, v[46:47]
	v_add_co_u32 v35, vcc_lo, v65, v35
	v_lshlrev_b64 v[41:42], 4, v[41:42]
	v_add_nc_u32_e32 v0, 0xff, v186
	v_add_co_ci_u32_e32 v36, vcc_lo, v66, v36, vcc_lo
	v_add_co_u32 v43, vcc_lo, v65, v43
	v_add_co_ci_u32_e32 v44, vcc_lo, v66, v44, vcc_lo
	v_dual_mov_b32 v46, v47 :: v_dual_mov_b32 v47, v54
	v_mov_b32_e32 v48, v56
	v_mad_u64_u32 v[61:62], null, s4, v0, 0
	v_add_co_u32 v41, vcc_lo, v65, v41
	v_add_co_ci_u32_e32 v42, vcc_lo, v66, v42, vcc_lo
	s_delay_alu instid0(VALU_DEP_4)
	v_mad_u64_u32 v[56:57], null, s5, v49, v[47:48]
	v_mad_u64_u32 v[63:64], null, s5, v50, v[48:49]
	;; [unrolled: 1-line block ×3, first 2 shown]
	s_clause 0x5
	global_load_b128 v[25:28], v[25:26], off
	global_load_b128 v[29:32], v[31:32], off
	;; [unrolled: 1-line block ×6, first 2 shown]
	v_lshlrev_b64 v[42:43], 4, v[45:46]
	v_dual_mov_b32 v41, v62 :: v_dual_mov_b32 v54, v56
	v_mov_b32_e32 v56, v63
	s_delay_alu instid0(VALU_DEP_2) | instskip(SKIP_4) | instid1(VALU_DEP_3)
	v_mad_u64_u32 v[44:45], null, s5, v0, v[41:42]
	v_mov_b32_e32 v41, v48
	v_add_co_u32 v42, vcc_lo, v65, v42
	v_lshlrev_b64 v[45:46], 4, v[53:54]
	v_add_co_ci_u32_e32 v43, vcc_lo, v66, v43, vcc_lo
	v_mad_u64_u32 v[53:54], null, s5, v67, v[41:42]
	v_mov_b32_e32 v62, v44
	v_lshlrev_b64 v[54:55], 4, v[55:56]
	v_add_co_u32 v44, vcc_lo, v65, v45
	v_add_co_ci_u32_e32 v45, vcc_lo, v66, v46, vcc_lo
	v_mov_b32_e32 v48, v53
	v_lshlrev_b64 v[61:62], 4, v[61:62]
	v_add_co_u32 v53, vcc_lo, v65, v54
	v_add_co_ci_u32_e32 v54, vcc_lo, v66, v55, vcc_lo
	s_delay_alu instid0(VALU_DEP_4) | instskip(NEXT) | instid1(VALU_DEP_4)
	v_lshlrev_b64 v[46:47], 4, v[47:48]
	v_add_co_u32 v69, vcc_lo, v65, v61
	v_add_co_ci_u32_e32 v70, vcc_lo, v66, v62, vcc_lo
	s_delay_alu instid0(VALU_DEP_3) | instskip(NEXT) | instid1(VALU_DEP_4)
	v_add_co_u32 v71, vcc_lo, v65, v46
	v_add_co_ci_u32_e32 v72, vcc_lo, v66, v47, vcc_lo
	s_clause 0x4
	global_load_b128 v[65:68], v[42:43], off
	global_load_b128 v[61:64], v[44:45], off
	;; [unrolled: 1-line block ×5, first 2 shown]
.LBB0_14:
	s_or_b32 exec_lo, exec_lo, s10
	s_waitcnt vmcnt(15)
	v_add_f64 v[69:70], v[5:6], v[1:2]
	v_add_f64 v[71:72], v[7:8], v[3:4]
	s_waitcnt vmcnt(7)
	v_add_f64 v[109:110], v[35:36], v[39:40]
	s_waitcnt vmcnt(5)
	v_add_f64 v[136:137], v[49:50], v[25:26]
	v_add_f64 v[134:135], v[25:26], -v[49:50]
	v_add_f64 v[128:129], v[33:34], v[37:38]
	v_add_f64 v[126:127], v[37:38], -v[33:34]
	;; [unrolled: 2-line block ×3, first 2 shown]
	s_waitcnt vmcnt(4)
	v_add_f64 v[140:141], v[65:66], v[21:22]
	v_add_f64 v[138:139], v[21:22], -v[65:66]
	s_waitcnt vmcnt(3)
	v_add_f64 v[150:151], v[61:62], v[17:18]
	v_add_f64 v[146:147], v[17:18], -v[61:62]
	;; [unrolled: 3-line block ×4, first 2 shown]
	s_mov_b32 s10, 0x370991
	s_mov_b32 s18, 0x75d4884
	;; [unrolled: 1-line block ×21, first 2 shown]
	v_add_f64 v[69:70], v[9:10], v[69:70]
	v_add_f64 v[71:72], v[11:12], v[71:72]
	s_mov_b32 s46, 0x6c9a05f6
	s_mov_b32 s58, 0x4363dd80
	;; [unrolled: 1-line block ×27, first 2 shown]
	v_mul_f64 v[111:112], v[138:139], s[58:59]
	v_mul_f64 v[114:115], v[136:137], s[28:29]
	;; [unrolled: 1-line block ×9, first 2 shown]
	v_add_f64 v[69:70], v[13:14], v[69:70]
	v_add_f64 v[71:72], v[15:16], v[71:72]
	v_mul_f64 v[154:155], v[150:151], s[28:29]
	v_mul_f64 v[156:157], v[146:147], s[50:51]
	;; [unrolled: 1-line block ×30, first 2 shown]
	v_add_f64 v[69:70], v[17:18], v[69:70]
	v_add_f64 v[71:72], v[19:20], v[71:72]
	s_delay_alu instid0(VALU_DEP_2) | instskip(NEXT) | instid1(VALU_DEP_2)
	v_add_f64 v[69:70], v[21:22], v[69:70]
	v_add_f64 v[71:72], v[23:24], v[71:72]
	s_delay_alu instid0(VALU_DEP_2) | instskip(NEXT) | instid1(VALU_DEP_2)
	;; [unrolled: 3-line block ×3, first 2 shown]
	v_add_f64 v[69:70], v[29:30], v[69:70]
	v_add_f64 v[73:74], v[31:32], v[71:72]
	v_add_f64 v[29:30], v[27:28], -v[51:52]
	s_delay_alu instid0(VALU_DEP_3) | instskip(NEXT) | instid1(VALU_DEP_3)
	v_add_f64 v[71:72], v[37:38], v[69:70]
	v_add_f64 v[73:74], v[39:40], v[73:74]
	v_add_f64 v[69:70], v[39:40], -v[35:36]
	v_add_f64 v[37:38], v[59:60], v[31:32]
	s_delay_alu instid0(VALU_DEP_4) | instskip(NEXT) | instid1(VALU_DEP_4)
	v_add_f64 v[39:40], v[33:34], v[71:72]
	v_add_f64 v[35:36], v[35:36], v[73:74]
	v_add_f64 v[33:34], v[31:32], -v[59:60]
	v_add_f64 v[31:32], v[51:52], v[27:28]
	v_add_f64 v[27:28], v[67:68], v[23:24]
	;; [unrolled: 1-line block ×4, first 2 shown]
	v_add_f64 v[57:58], v[15:16], -v[55:56]
	s_delay_alu instid0(VALU_DEP_3) | instskip(NEXT) | instid1(VALU_DEP_3)
	v_add_f64 v[39:40], v[49:50], v[39:40]
	v_add_f64 v[49:50], v[51:52], v[35:36]
	v_add_f64 v[35:36], v[23:24], -v[67:68]
	v_add_f64 v[51:52], v[55:56], v[15:16]
	s_delay_alu instid0(VALU_DEP_4) | instskip(NEXT) | instid1(VALU_DEP_4)
	v_add_f64 v[21:22], v[65:66], v[39:40]
	v_add_f64 v[23:24], v[67:68], v[49:50]
	;; [unrolled: 1-line block ×3, first 2 shown]
	v_add_f64 v[49:50], v[19:20], -v[63:64]
	s_delay_alu instid0(VALU_DEP_4) | instskip(NEXT) | instid1(VALU_DEP_4)
	v_add_f64 v[17:18], v[61:62], v[21:22]
	v_add_f64 v[19:20], v[63:64], v[23:24]
	s_delay_alu instid0(VALU_DEP_2) | instskip(NEXT) | instid1(VALU_DEP_2)
	v_add_f64 v[13:14], v[53:54], v[17:18]
	v_add_f64 v[15:16], v[55:56], v[19:20]
	;; [unrolled: 1-line block ×3, first 2 shown]
	v_add_f64 v[55:56], v[11:12], -v[47:48]
	s_waitcnt vmcnt(0)
	v_add_f64 v[17:18], v[5:6], -v[41:42]
	v_add_f64 v[19:20], v[7:8], -v[43:44]
	v_add_f64 v[9:10], v[45:46], v[13:14]
	v_add_f64 v[11:12], v[47:48], v[15:16]
	;; [unrolled: 1-line block ×4, first 2 shown]
	v_mul_f64 v[81:82], v[17:18], s[40:41]
	v_mul_f64 v[83:84], v[17:18], s[38:39]
	;; [unrolled: 1-line block ×3, first 2 shown]
	v_add_f64 v[182:183], v[41:42], v[9:10]
	v_add_f64 v[184:185], v[43:44], v[11:12]
	v_mul_f64 v[9:10], v[13:14], s[10:11]
	v_mul_f64 v[11:12], v[13:14], s[18:19]
	;; [unrolled: 1-line block ×8, first 2 shown]
	v_fma_f64 v[101:102], v[15:16], s[28:29], v[81:82]
	v_fma_f64 v[81:82], v[15:16], s[28:29], -v[81:82]
	v_fma_f64 v[103:104], v[15:16], s[24:25], v[83:84]
	v_fma_f64 v[83:84], v[15:16], s[24:25], -v[83:84]
	;; [unrolled: 2-line block ×3, first 2 shown]
	v_fma_f64 v[47:48], v[19:20], s[12:13], v[9:10]
	v_fma_f64 v[9:10], v[19:20], s[52:53], v[9:10]
	;; [unrolled: 1-line block ×16, first 2 shown]
	v_mul_f64 v[19:20], v[17:18], s[52:53]
	v_mul_f64 v[41:42], v[17:18], s[54:55]
	;; [unrolled: 1-line block ×5, first 2 shown]
	v_add_f64 v[189:190], v[3:4], v[101:102]
	v_add_f64 v[193:194], v[3:4], v[103:104]
	;; [unrolled: 1-line block ×5, first 2 shown]
	v_mul_f64 v[85:86], v[172:173], s[24:25]
	v_mul_f64 v[105:106], v[150:151], s[14:15]
	v_add_f64 v[5:6], v[1:2], v[9:10]
	v_add_f64 v[9:10], v[1:2], v[59:60]
	v_mul_f64 v[59:60], v[132:133], s[10:11]
	v_add_f64 v[144:145], v[1:2], v[61:62]
	v_mul_f64 v[61:62], v[126:127], s[38:39]
	v_add_f64 v[191:192], v[1:2], v[71:72]
	v_add_f64 v[195:196], v[1:2], v[73:74]
	;; [unrolled: 1-line block ×5, first 2 shown]
	v_mul_f64 v[71:72], v[170:171], s[38:39]
	v_fma_f64 v[87:88], v[15:16], s[10:11], v[19:20]
	v_fma_f64 v[19:20], v[15:16], s[10:11], -v[19:20]
	v_fma_f64 v[91:92], v[15:16], s[18:19], -v[41:42]
	;; [unrolled: 1-line block ×3, first 2 shown]
	v_fma_f64 v[89:90], v[15:16], s[18:19], v[41:42]
	v_fma_f64 v[93:94], v[15:16], s[22:23], v[43:44]
	v_fma_f64 v[99:100], v[15:16], s[34:35], -v[45:46]
	v_fma_f64 v[97:98], v[15:16], s[34:35], v[45:46]
	v_fma_f64 v[107:108], v[15:16], s[14:15], v[17:18]
	v_fma_f64 v[15:16], v[15:16], s[14:15], -v[17:18]
	v_add_f64 v[17:18], v[1:2], v[47:48]
	v_mul_f64 v[41:42], v[140:141], s[14:15]
	v_mul_f64 v[43:44], v[138:139], s[30:31]
	;; [unrolled: 1-line block ×4, first 2 shown]
	scratch_store_b64 off, v[5:6], off offset:4 ; 8-byte Folded Spill
	v_add_f64 v[87:88], v[3:4], v[87:88]
	v_add_f64 v[5:6], v[3:4], v[19:20]
	;; [unrolled: 1-line block ×8, first 2 shown]
	v_mul_f64 v[97:98], v[178:179], s[34:35]
	v_fma_f64 v[13:14], v[57:58], s[46:47], v[85:86]
	v_mul_f64 v[107:108], v[146:147], s[30:31]
	v_mul_f64 v[67:68], v[140:141], s[20:21]
	scratch_store_b64 off, v[5:6], off offset:12 ; 8-byte Folded Spill
	v_add_f64 v[5:6], v[1:2], v[11:12]
	scratch_store_b64 off, v[5:6], off offset:28 ; 8-byte Folded Spill
	v_add_f64 v[5:6], v[3:4], v[91:92]
	v_add_f64 v[91:92], v[3:4], v[15:16]
	scratch_store_b64 off, v[5:6], off offset:20 ; 8-byte Folded Spill
	v_add_f64 v[5:6], v[1:2], v[21:22]
	v_add_f64 v[21:22], v[1:2], v[63:64]
	v_mul_f64 v[63:64], v[128:129], s[24:25]
	scratch_store_b64 off, v[5:6], off offset:156 ; 8-byte Folded Spill
	v_add_f64 v[5:6], v[3:4], v[95:96]
	v_add_f64 v[95:96], v[3:4], v[81:82]
	scratch_store_b64 off, v[5:6], off offset:148 ; 8-byte Folded Spill
	v_add_f64 v[5:6], v[1:2], v[23:24]
	v_add_f64 v[23:24], v[1:2], v[65:66]
	v_mul_f64 v[0:1], v[178:179], s[18:19]
	v_mul_f64 v[65:66], v[130:131], s[52:53]
	scratch_store_b64 off, v[5:6], off offset:172 ; 8-byte Folded Spill
	v_add_f64 v[5:6], v[3:4], v[99:100]
	v_mul_f64 v[3:4], v[176:177], s[54:55]
	scratch_store_b64 off, v[0:1], off offset:44 ; 8-byte Folded Spill
	v_fma_f64 v[1:2], v[55:56], s[16:17], v[0:1]
	v_mul_f64 v[99:100], v[176:177], s[44:45]
	scratch_store_b64 off, v[5:6], off offset:164 ; 8-byte Folded Spill
	v_mul_f64 v[5:6], v[172:173], s[22:23]
	scratch_store_b64 off, v[3:4], off offset:52 ; 8-byte Folded Spill
	v_add_f64 v[1:2], v[1:2], v[17:18]
	v_fma_f64 v[3:4], v[53:54], s[18:19], v[3:4]
	scratch_store_b64 off, v[5:6], off offset:60 ; 8-byte Folded Spill
	v_fma_f64 v[11:12], v[57:58], s[26:27], v[5:6]
	v_mul_f64 v[5:6], v[170:171], s[56:57]
	v_add_f64 v[3:4], v[3:4], v[87:88]
	v_mul_f64 v[87:88], v[126:127], s[30:31]
	s_delay_alu instid0(VALU_DEP_4) | instskip(SKIP_3) | instid1(VALU_DEP_2)
	v_add_f64 v[1:2], v[11:12], v[1:2]
	scratch_store_b64 off, v[5:6], off offset:68 ; 8-byte Folded Spill
	v_fma_f64 v[11:12], v[51:52], s[22:23], v[5:6]
	v_mul_f64 v[5:6], v[150:151], s[34:35]
	v_add_f64 v[3:4], v[11:12], v[3:4]
	scratch_store_b64 off, v[5:6], off offset:76 ; 8-byte Folded Spill
	v_fma_f64 v[11:12], v[49:50], s[42:43], v[5:6]
	v_mul_f64 v[5:6], v[146:147], s[44:45]
	s_delay_alu instid0(VALU_DEP_2) | instskip(SKIP_3) | instid1(VALU_DEP_2)
	v_add_f64 v[1:2], v[11:12], v[1:2]
	scratch_store_b64 off, v[5:6], off offset:84 ; 8-byte Folded Spill
	v_fma_f64 v[11:12], v[39:40], s[34:35], v[5:6]
	v_mul_f64 v[5:6], v[140:141], s[28:29]
	v_add_f64 v[3:4], v[11:12], v[3:4]
	scratch_store_b64 off, v[5:6], off offset:92 ; 8-byte Folded Spill
	v_fma_f64 v[11:12], v[35:36], s[50:51], v[5:6]
	v_mul_f64 v[5:6], v[138:139], s[40:41]
	s_delay_alu instid0(VALU_DEP_2) | instskip(SKIP_3) | instid1(VALU_DEP_2)
	;; [unrolled: 9-line block ×4, first 2 shown]
	v_add_f64 v[1:2], v[11:12], v[1:2]
	scratch_store_b64 off, v[5:6], off offset:132 ; 8-byte Folded Spill
	v_fma_f64 v[11:12], v[37:38], s[20:21], v[5:6]
	v_mul_f64 v[5:6], v[128:129], s[14:15]
	v_add_f64 v[3:4], v[11:12], v[3:4]
	s_delay_alu instid0(VALU_DEP_2)
	v_fma_f64 v[11:12], v[69:70], s[60:61], v[5:6]
	scratch_store_b64 off, v[5:6], off offset:140 ; 8-byte Folded Spill
	v_mul_f64 v[6:7], v[134:135], s[54:55]
	v_add_f64 v[101:102], v[11:12], v[1:2]
	v_fma_f64 v[11:12], v[109:110], s[14:15], v[87:88]
	v_mul_f64 v[0:1], v[128:129], s[22:23]
	s_delay_alu instid0(VALU_DEP_2) | instskip(SKIP_3) | instid1(VALU_DEP_3)
	v_add_f64 v[103:104], v[11:12], v[3:4]
	v_fma_f64 v[11:12], v[55:56], s[42:43], v[97:98]
	v_mul_f64 v[4:5], v[132:133], s[14:15]
	v_mul_f64 v[2:3], v[130:131], s[30:31]
	v_add_f64 v[9:10], v[11:12], v[9:10]
	v_fma_f64 v[11:12], v[53:54], s[34:35], v[99:100]
	s_delay_alu instid0(VALU_DEP_2) | instskip(NEXT) | instid1(VALU_DEP_2)
	v_add_f64 v[9:10], v[13:14], v[9:10]
	v_add_f64 v[11:12], v[11:12], v[19:20]
	v_fma_f64 v[13:14], v[51:52], s[24:25], v[71:72]
	v_fma_f64 v[19:20], v[53:54], s[14:15], v[217:218]
	s_delay_alu instid0(VALU_DEP_2) | instskip(SKIP_1) | instid1(VALU_DEP_3)
	v_add_f64 v[11:12], v[13:14], v[11:12]
	v_fma_f64 v[13:14], v[49:50], s[60:61], v[105:106]
	v_add_f64 v[19:20], v[19:20], v[187:188]
	v_fma_f64 v[187:188], v[57:58], s[54:55], v[249:250]
	s_delay_alu instid0(VALU_DEP_3) | instskip(SKIP_1) | instid1(VALU_DEP_1)
	v_add_f64 v[9:10], v[13:14], v[9:10]
	v_fma_f64 v[13:14], v[39:40], s[14:15], v[107:108]
	v_add_f64 v[11:12], v[13:14], v[11:12]
	v_fma_f64 v[13:14], v[35:36], s[36:37], v[67:68]
	s_delay_alu instid0(VALU_DEP_1) | instskip(SKIP_1) | instid1(VALU_DEP_1)
	v_add_f64 v[9:10], v[13:14], v[9:10]
	v_fma_f64 v[13:14], v[27:28], s[20:21], v[111:112]
	v_add_f64 v[11:12], v[13:14], v[11:12]
	v_fma_f64 v[13:14], v[29:30], s[40:41], v[114:115]
	s_delay_alu instid0(VALU_DEP_1) | instskip(SKIP_1) | instid1(VALU_DEP_1)
	;; [unrolled: 5-line block ×3, first 2 shown]
	v_add_f64 v[9:10], v[13:14], v[9:10]
	v_fma_f64 v[13:14], v[37:38], s[22:23], v[120:121]
	v_add_f64 v[11:12], v[13:14], v[11:12]
	v_fma_f64 v[13:14], v[69:70], s[52:53], v[122:123]
	s_delay_alu instid0(VALU_DEP_1) | instskip(SKIP_2) | instid1(VALU_DEP_2)
	v_add_f64 v[81:82], v[13:14], v[9:10]
	v_fma_f64 v[13:14], v[109:110], s[10:11], v[124:125]
	v_mul_f64 v[8:9], v[136:137], s[18:19]
	v_add_f64 v[83:84], v[13:14], v[11:12]
	v_fma_f64 v[13:14], v[55:56], s[46:47], v[142:143]
	v_fma_f64 v[10:11], v[33:34], s[12:13], v[59:60]
	s_delay_alu instid0(VALU_DEP_2) | instskip(SKIP_1) | instid1(VALU_DEP_1)
	v_add_f64 v[13:14], v[13:14], v[144:145]
	v_mul_f64 v[144:145], v[176:177], s[38:39]
	v_fma_f64 v[15:16], v[53:54], s[24:25], v[144:145]
	s_delay_alu instid0(VALU_DEP_1) | instskip(SKIP_1) | instid1(VALU_DEP_1)
	v_add_f64 v[15:16], v[15:16], v[148:149]
	v_mul_f64 v[148:149], v[172:173], s[14:15]
	v_fma_f64 v[17:18], v[57:58], s[30:31], v[148:149]
	s_delay_alu instid0(VALU_DEP_1) | instskip(SKIP_1) | instid1(VALU_DEP_1)
	v_add_f64 v[13:14], v[17:18], v[13:14]
	v_fma_f64 v[17:18], v[51:52], s[14:15], v[152:153]
	v_add_f64 v[15:16], v[17:18], v[15:16]
	v_fma_f64 v[17:18], v[49:50], s[40:41], v[154:155]
	s_delay_alu instid0(VALU_DEP_1) | instskip(SKIP_1) | instid1(VALU_DEP_1)
	v_add_f64 v[13:14], v[17:18], v[13:14]
	v_fma_f64 v[17:18], v[39:40], s[28:29], v[156:157]
	v_add_f64 v[15:16], v[17:18], v[15:16]
	v_fma_f64 v[17:18], v[35:36], s[54:55], v[158:159]
	s_delay_alu instid0(VALU_DEP_1) | instskip(SKIP_1) | instid1(VALU_DEP_1)
	v_add_f64 v[13:14], v[17:18], v[13:14]
	v_fma_f64 v[17:18], v[27:28], s[18:19], v[160:161]
	v_add_f64 v[15:16], v[17:18], v[15:16]
	v_fma_f64 v[17:18], v[29:30], s[12:13], v[162:163]
	s_delay_alu instid0(VALU_DEP_1) | instskip(SKIP_1) | instid1(VALU_DEP_1)
	v_add_f64 v[13:14], v[17:18], v[13:14]
	v_fma_f64 v[17:18], v[31:32], s[10:11], v[164:165]
	v_add_f64 v[15:16], v[17:18], v[15:16]
	v_fma_f64 v[17:18], v[33:34], s[42:43], v[166:167]
	s_delay_alu instid0(VALU_DEP_1) | instskip(SKIP_1) | instid1(VALU_DEP_1)
	v_add_f64 v[13:14], v[17:18], v[13:14]
	v_fma_f64 v[17:18], v[37:38], s[34:35], v[168:169]
	v_add_f64 v[15:16], v[17:18], v[15:16]
	v_fma_f64 v[17:18], v[69:70], s[58:59], v[174:175]
	s_delay_alu instid0(VALU_DEP_1) | instskip(SKIP_2) | instid1(VALU_DEP_2)
	v_add_f64 v[77:78], v[17:18], v[13:14]
	v_fma_f64 v[17:18], v[109:110], s[20:21], v[180:181]
	v_mul_f64 v[12:13], v[140:141], s[34:35]
	v_add_f64 v[79:80], v[17:18], v[15:16]
	v_fma_f64 v[17:18], v[55:56], s[60:61], v[215:216]
	v_fma_f64 v[14:15], v[37:38], s[10:11], v[65:66]
	s_delay_alu instid0(VALU_DEP_2) | instskip(SKIP_1) | instid1(VALU_DEP_1)
	v_add_f64 v[17:18], v[17:18], v[21:22]
	v_fma_f64 v[21:22], v[57:58], s[40:41], v[219:220]
	v_add_f64 v[17:18], v[21:22], v[17:18]
	v_fma_f64 v[21:22], v[51:52], s[28:29], v[221:222]
	s_delay_alu instid0(VALU_DEP_1) | instskip(SKIP_1) | instid1(VALU_DEP_1)
	v_add_f64 v[19:20], v[21:22], v[19:20]
	v_fma_f64 v[21:22], v[49:50], s[52:53], v[223:224]
	v_add_f64 v[17:18], v[21:22], v[17:18]
	v_fma_f64 v[21:22], v[39:40], s[10:11], v[225:226]
	s_delay_alu instid0(VALU_DEP_1) | instskip(SKIP_1) | instid1(VALU_DEP_1)
	v_add_f64 v[19:20], v[21:22], v[19:20]
	v_fma_f64 v[21:22], v[35:36], s[26:27], v[227:228]
	v_add_f64 v[17:18], v[21:22], v[17:18]
	v_fma_f64 v[21:22], v[27:28], s[22:23], v[229:230]
	s_delay_alu instid0(VALU_DEP_1) | instskip(SKIP_1) | instid1(VALU_DEP_1)
	v_add_f64 v[19:20], v[21:22], v[19:20]
	v_fma_f64 v[21:22], v[29:30], s[58:59], v[231:232]
	v_add_f64 v[17:18], v[21:22], v[17:18]
	v_fma_f64 v[21:22], v[31:32], s[20:21], v[233:234]
	s_delay_alu instid0(VALU_DEP_1) | instskip(SKIP_1) | instid1(VALU_DEP_1)
	v_add_f64 v[19:20], v[21:22], v[19:20]
	v_fma_f64 v[21:22], v[33:34], s[38:39], v[235:236]
	v_add_f64 v[17:18], v[21:22], v[17:18]
	v_fma_f64 v[21:22], v[37:38], s[24:25], v[237:238]
	s_delay_alu instid0(VALU_DEP_1) | instskip(SKIP_1) | instid1(VALU_DEP_1)
	v_add_f64 v[19:20], v[21:22], v[19:20]
	v_fma_f64 v[21:22], v[69:70], s[54:55], v[241:242]
	v_add_f64 v[73:74], v[21:22], v[17:18]
	v_fma_f64 v[21:22], v[109:110], s[18:19], v[243:244]
	v_mul_f64 v[16:17], v[150:151], s[20:21]
	s_delay_alu instid0(VALU_DEP_2) | instskip(SKIP_2) | instid1(VALU_DEP_2)
	v_add_f64 v[75:76], v[21:22], v[19:20]
	v_fma_f64 v[21:22], v[55:56], s[36:37], v[245:246]
	v_fma_f64 v[18:19], v[69:70], s[46:47], v[63:64]
	v_add_f64 v[21:22], v[21:22], v[23:24]
	v_fma_f64 v[23:24], v[53:54], s[20:21], v[247:248]
	s_delay_alu instid0(VALU_DEP_2) | instskip(NEXT) | instid1(VALU_DEP_2)
	v_add_f64 v[21:22], v[187:188], v[21:22]
	v_add_f64 v[23:24], v[23:24], v[189:190]
	v_fma_f64 v[187:188], v[51:52], s[18:19], v[251:252]
	s_delay_alu instid0(VALU_DEP_1) | instskip(SKIP_1) | instid1(VALU_DEP_1)
	v_add_f64 v[23:24], v[187:188], v[23:24]
	v_fma_f64 v[187:188], v[49:50], s[26:27], v[253:254]
	v_add_f64 v[21:22], v[187:188], v[21:22]
	v_fma_f64 v[187:188], v[39:40], s[22:23], v[239:240]
	s_delay_alu instid0(VALU_DEP_1) | instskip(SKIP_1) | instid1(VALU_DEP_1)
	v_add_f64 v[23:24], v[187:188], v[23:24]
	v_fma_f64 v[187:188], v[35:36], s[60:61], v[41:42]
	;; [unrolled: 5-line block ×3, first 2 shown]
	v_add_f64 v[21:22], v[187:188], v[21:22]
	v_fma_f64 v[187:188], v[31:32], s[34:35], v[47:48]
	s_delay_alu instid0(VALU_DEP_2) | instskip(NEXT) | instid1(VALU_DEP_2)
	v_add_f64 v[10:11], v[10:11], v[21:22]
	v_add_f64 v[23:24], v[187:188], v[23:24]
	v_mul_f64 v[20:21], v[170:171], s[52:53]
	s_delay_alu instid0(VALU_DEP_3) | instskip(NEXT) | instid1(VALU_DEP_3)
	v_add_f64 v[211:212], v[18:19], v[10:11]
	v_add_f64 v[14:15], v[14:15], v[23:24]
	v_fma_f64 v[18:19], v[109:110], s[24:25], v[61:62]
	v_mul_f64 v[24:25], v[178:179], s[28:29]
	v_fma_f64 v[22:23], v[51:52], s[10:11], v[20:21]
	v_mul_f64 v[10:11], v[138:139], s[42:43]
	v_fma_f64 v[20:21], v[51:52], s[10:11], -v[20:21]
	v_add_f64 v[213:214], v[18:19], v[14:15]
	v_fma_f64 v[18:19], v[55:56], s[40:41], v[24:25]
	v_mul_f64 v[14:15], v[146:147], s[36:37]
	s_delay_alu instid0(VALU_DEP_2) | instskip(SKIP_1) | instid1(VALU_DEP_1)
	v_add_f64 v[18:19], v[18:19], v[191:192]
	v_mul_f64 v[191:192], v[176:177], s[50:51]
	v_fma_f64 v[187:188], v[53:54], s[28:29], v[191:192]
	s_delay_alu instid0(VALU_DEP_1) | instskip(SKIP_1) | instid1(VALU_DEP_2)
	v_add_f64 v[187:188], v[187:188], v[193:194]
	v_mul_f64 v[193:194], v[172:173], s[10:11]
	v_add_f64 v[22:23], v[22:23], v[187:188]
	s_delay_alu instid0(VALU_DEP_2) | instskip(SKIP_2) | instid1(VALU_DEP_3)
	v_fma_f64 v[189:190], v[57:58], s[12:13], v[193:194]
	v_fma_f64 v[187:188], v[49:50], s[58:59], v[16:17]
	v_fma_f64 v[16:17], v[49:50], s[36:37], v[16:17]
	v_add_f64 v[18:19], v[189:190], v[18:19]
	s_delay_alu instid0(VALU_DEP_1) | instskip(SKIP_2) | instid1(VALU_DEP_2)
	v_add_f64 v[18:19], v[187:188], v[18:19]
	v_fma_f64 v[187:188], v[39:40], s[20:21], v[14:15]
	v_fma_f64 v[14:15], v[39:40], s[20:21], -v[14:15]
	v_add_f64 v[22:23], v[187:188], v[22:23]
	v_fma_f64 v[187:188], v[35:36], s[44:45], v[12:13]
	v_fma_f64 v[12:13], v[35:36], s[42:43], v[12:13]
	s_delay_alu instid0(VALU_DEP_2) | instskip(SKIP_2) | instid1(VALU_DEP_2)
	v_add_f64 v[18:19], v[187:188], v[18:19]
	v_fma_f64 v[187:188], v[27:28], s[34:35], v[10:11]
	v_fma_f64 v[10:11], v[27:28], s[34:35], -v[10:11]
	v_add_f64 v[22:23], v[187:188], v[22:23]
	v_fma_f64 v[187:188], v[29:30], s[16:17], v[8:9]
	v_fma_f64 v[8:9], v[29:30], s[54:55], v[8:9]
	s_delay_alu instid0(VALU_DEP_2) | instskip(SKIP_2) | instid1(VALU_DEP_2)
	;; [unrolled: 7-line block ×3, first 2 shown]
	v_add_f64 v[18:19], v[187:188], v[18:19]
	v_fma_f64 v[187:188], v[37:38], s[14:15], v[2:3]
	v_fma_f64 v[2:3], v[37:38], s[14:15], -v[2:3]
	v_add_f64 v[22:23], v[187:188], v[22:23]
	v_fma_f64 v[187:188], v[69:70], s[56:57], v[0:1]
	v_fma_f64 v[0:1], v[69:70], s[26:27], v[0:1]
	s_delay_alu instid0(VALU_DEP_2) | instskip(SKIP_1) | instid1(VALU_DEP_1)
	v_add_f64 v[187:188], v[187:188], v[18:19]
	v_mul_f64 v[18:19], v[126:127], s[26:27]
	v_fma_f64 v[189:190], v[109:110], s[22:23], v[18:19]
	s_delay_alu instid0(VALU_DEP_1) | instskip(SKIP_3) | instid1(VALU_DEP_3)
	v_add_f64 v[189:190], v[189:190], v[22:23]
	v_fma_f64 v[22:23], v[55:56], s[50:51], v[24:25]
	v_fma_f64 v[24:25], v[53:54], s[28:29], -v[191:192]
	v_fma_f64 v[191:192], v[57:58], s[52:53], v[193:194]
	v_add_f64 v[22:23], v[22:23], v[195:196]
	s_delay_alu instid0(VALU_DEP_3) | instskip(NEXT) | instid1(VALU_DEP_2)
	v_add_f64 v[24:25], v[24:25], v[197:198]
	v_add_f64 v[22:23], v[191:192], v[22:23]
	s_delay_alu instid0(VALU_DEP_2) | instskip(NEXT) | instid1(VALU_DEP_2)
	v_add_f64 v[20:21], v[20:21], v[24:25]
	v_add_f64 v[16:17], v[16:17], v[22:23]
	s_delay_alu instid0(VALU_DEP_2) | instskip(NEXT) | instid1(VALU_DEP_2)
	;; [unrolled: 3-line block ×4, first 2 shown]
	v_add_f64 v[6:7], v[6:7], v[10:11]
	v_add_f64 v[4:5], v[4:5], v[8:9]
	s_delay_alu instid0(VALU_DEP_2) | instskip(SKIP_2) | instid1(VALU_DEP_4)
	v_add_f64 v[2:3], v[2:3], v[6:7]
	v_fma_f64 v[6:7], v[109:110], s[22:23], -v[18:19]
	v_mul_f64 v[8:9], v[172:173], s[34:35]
	v_add_f64 v[191:192], v[0:1], v[4:5]
	v_mul_f64 v[0:1], v[178:179], s[22:23]
	s_delay_alu instid0(VALU_DEP_4) | instskip(SKIP_2) | instid1(VALU_DEP_4)
	v_add_f64 v[193:194], v[6:7], v[2:3]
	v_mul_f64 v[4:5], v[176:177], s[26:27]
	v_fma_f64 v[10:11], v[57:58], s[42:43], v[8:9]
	v_fma_f64 v[2:3], v[55:56], s[56:57], v[0:1]
	;; [unrolled: 1-line block ×3, first 2 shown]
	s_delay_alu instid0(VALU_DEP_4) | instskip(SKIP_1) | instid1(VALU_DEP_4)
	v_fma_f64 v[6:7], v[53:54], s[22:23], v[4:5]
	v_fma_f64 v[4:5], v[53:54], s[22:23], -v[4:5]
	v_add_f64 v[2:3], v[2:3], v[199:200]
	v_mul_f64 v[199:200], v[130:131], s[16:17]
	s_delay_alu instid0(VALU_DEP_4)
	v_add_f64 v[6:7], v[6:7], v[201:202]
	v_mul_f64 v[201:202], v[128:129], s[28:29]
	v_add_f64 v[0:1], v[0:1], v[203:204]
	v_add_f64 v[4:5], v[4:5], v[205:206]
	v_mul_f64 v[130:131], v[130:131], s[40:41]
	v_add_f64 v[2:3], v[10:11], v[2:3]
	v_mul_f64 v[10:11], v[170:171], s[44:45]
	s_delay_alu instid0(VALU_DEP_1) | instskip(NEXT) | instid1(VALU_DEP_1)
	v_fma_f64 v[12:13], v[51:52], s[34:35], v[10:11]
	v_add_f64 v[6:7], v[12:13], v[6:7]
	v_mul_f64 v[12:13], v[150:151], s[24:25]
	s_delay_alu instid0(VALU_DEP_1) | instskip(NEXT) | instid1(VALU_DEP_1)
	v_fma_f64 v[14:15], v[49:50], s[38:39], v[12:13]
	;; [unrolled: 4-line block ×8, first 2 shown]
	v_add_f64 v[2:3], v[195:196], v[2:3]
	v_fma_f64 v[195:196], v[37:38], s[18:19], v[199:200]
	s_delay_alu instid0(VALU_DEP_1) | instskip(SKIP_1) | instid1(VALU_DEP_1)
	v_add_f64 v[6:7], v[195:196], v[6:7]
	v_fma_f64 v[195:196], v[69:70], s[50:51], v[201:202]
	v_add_f64 v[195:196], v[195:196], v[2:3]
	v_mul_f64 v[2:3], v[126:127], s[40:41]
	s_delay_alu instid0(VALU_DEP_1) | instskip(SKIP_1) | instid1(VALU_DEP_2)
	v_fma_f64 v[197:198], v[109:110], s[28:29], v[2:3]
	v_fma_f64 v[2:3], v[109:110], s[28:29], -v[2:3]
	v_add_f64 v[197:198], v[197:198], v[6:7]
	v_fma_f64 v[6:7], v[57:58], s[44:45], v[8:9]
	v_mul_f64 v[8:9], v[172:173], s[20:21]
	s_delay_alu instid0(VALU_DEP_2) | instskip(SKIP_1) | instid1(VALU_DEP_3)
	v_add_f64 v[0:1], v[6:7], v[0:1]
	v_fma_f64 v[6:7], v[51:52], s[34:35], -v[10:11]
	v_fma_f64 v[10:11], v[57:58], s[58:59], v[8:9]
	s_delay_alu instid0(VALU_DEP_2) | instskip(SKIP_1) | instid1(VALU_DEP_1)
	v_add_f64 v[4:5], v[6:7], v[4:5]
	v_fma_f64 v[6:7], v[49:50], s[46:47], v[12:13]
	v_add_f64 v[0:1], v[6:7], v[0:1]
	v_fma_f64 v[6:7], v[39:40], s[24:25], -v[14:15]
	s_delay_alu instid0(VALU_DEP_1) | instskip(SKIP_1) | instid1(VALU_DEP_1)
	v_add_f64 v[4:5], v[6:7], v[4:5]
	v_fma_f64 v[6:7], v[35:36], s[52:53], v[16:17]
	v_add_f64 v[0:1], v[6:7], v[0:1]
	v_fma_f64 v[6:7], v[27:28], s[10:11], -v[18:19]
	s_delay_alu instid0(VALU_DEP_1) | instskip(SKIP_1) | instid1(VALU_DEP_1)
	;; [unrolled: 5-line block ×3, first 2 shown]
	v_add_f64 v[4:5], v[6:7], v[4:5]
	v_fma_f64 v[6:7], v[33:34], s[16:17], v[24:25]
	v_add_f64 v[0:1], v[6:7], v[0:1]
	v_fma_f64 v[6:7], v[37:38], s[18:19], -v[199:200]
	s_delay_alu instid0(VALU_DEP_1) | instskip(SKIP_1) | instid1(VALU_DEP_2)
	v_add_f64 v[4:5], v[6:7], v[4:5]
	v_fma_f64 v[6:7], v[69:70], s[40:41], v[201:202]
	v_add_f64 v[201:202], v[2:3], v[4:5]
	s_delay_alu instid0(VALU_DEP_2) | instskip(SKIP_2) | instid1(VALU_DEP_2)
	v_add_f64 v[199:200], v[6:7], v[0:1]
	v_mul_f64 v[0:1], v[178:179], s[10:11]
	v_mul_f64 v[4:5], v[176:177], s[12:13]
	v_fma_f64 v[2:3], v[55:56], s[52:53], v[0:1]
	s_delay_alu instid0(VALU_DEP_2) | instskip(SKIP_1) | instid1(VALU_DEP_3)
	v_fma_f64 v[6:7], v[53:54], s[10:11], v[4:5]
	v_fma_f64 v[0:1], v[55:56], s[12:13], v[0:1]
	v_add_f64 v[2:3], v[2:3], v[207:208]
	s_delay_alu instid0(VALU_DEP_3) | instskip(NEXT) | instid1(VALU_DEP_3)
	v_add_f64 v[6:7], v[6:7], v[209:210]
	v_add_f64 v[0:1], v[0:1], v[89:90]
	s_delay_alu instid0(VALU_DEP_3) | instskip(SKIP_1) | instid1(VALU_DEP_1)
	v_add_f64 v[2:3], v[10:11], v[2:3]
	v_mul_f64 v[10:11], v[170:171], s[36:37]
	v_fma_f64 v[12:13], v[51:52], s[20:21], v[10:11]
	s_delay_alu instid0(VALU_DEP_1) | instskip(SKIP_1) | instid1(VALU_DEP_1)
	v_add_f64 v[6:7], v[12:13], v[6:7]
	v_mul_f64 v[12:13], v[150:151], s[18:19]
	v_fma_f64 v[14:15], v[49:50], s[54:55], v[12:13]
	s_delay_alu instid0(VALU_DEP_1) | instskip(SKIP_1) | instid1(VALU_DEP_1)
	;; [unrolled: 4-line block ×5, first 2 shown]
	v_add_f64 v[6:7], v[20:21], v[6:7]
	v_mul_f64 v[20:21], v[136:137], s[22:23]
	v_fma_f64 v[22:23], v[29:30], s[56:57], v[20:21]
	s_delay_alu instid0(VALU_DEP_1) | instskip(SKIP_2) | instid1(VALU_DEP_2)
	v_add_f64 v[2:3], v[22:23], v[2:3]
	v_mul_f64 v[22:23], v[134:135], s[26:27]
	v_mul_f64 v[134:135], v[126:127], s[42:43]
	v_fma_f64 v[24:25], v[31:32], s[22:23], v[22:23]
	s_delay_alu instid0(VALU_DEP_1) | instskip(SKIP_1) | instid1(VALU_DEP_1)
	v_add_f64 v[6:7], v[24:25], v[6:7]
	v_mul_f64 v[24:25], v[132:133], s[28:29]
	v_fma_f64 v[132:133], v[33:34], s[50:51], v[24:25]
	s_delay_alu instid0(VALU_DEP_1) | instskip(SKIP_1) | instid1(VALU_DEP_1)
	v_add_f64 v[2:3], v[132:133], v[2:3]
	v_fma_f64 v[132:133], v[37:38], s[28:29], v[130:131]
	v_add_f64 v[6:7], v[132:133], v[6:7]
	v_mul_f64 v[132:133], v[128:129], s[34:35]
	s_delay_alu instid0(VALU_DEP_1) | instskip(NEXT) | instid1(VALU_DEP_1)
	v_fma_f64 v[126:127], v[69:70], s[44:45], v[132:133]
	v_add_f64 v[126:127], v[126:127], v[2:3]
	v_fma_f64 v[2:3], v[109:110], s[34:35], v[134:135]
	s_delay_alu instid0(VALU_DEP_1) | instskip(SKIP_3) | instid1(VALU_DEP_3)
	v_add_f64 v[128:129], v[2:3], v[6:7]
	v_fma_f64 v[2:3], v[53:54], s[10:11], -v[4:5]
	v_fma_f64 v[4:5], v[57:58], s[36:37], v[8:9]
	v_fma_f64 v[6:7], v[109:110], s[34:35], -v[134:135]
	v_add_f64 v[2:3], v[2:3], v[91:92]
	s_delay_alu instid0(VALU_DEP_3) | instskip(SKIP_1) | instid1(VALU_DEP_1)
	v_add_f64 v[0:1], v[4:5], v[0:1]
	v_fma_f64 v[4:5], v[51:52], s[20:21], -v[10:11]
	v_add_f64 v[2:3], v[4:5], v[2:3]
	v_fma_f64 v[4:5], v[49:50], s[16:17], v[12:13]
	s_delay_alu instid0(VALU_DEP_1) | instskip(SKIP_1) | instid1(VALU_DEP_1)
	v_add_f64 v[0:1], v[4:5], v[0:1]
	v_fma_f64 v[4:5], v[39:40], s[18:19], -v[14:15]
	v_add_f64 v[2:3], v[4:5], v[2:3]
	v_fma_f64 v[4:5], v[35:36], s[38:39], v[16:17]
	s_delay_alu instid0(VALU_DEP_1) | instskip(SKIP_1) | instid1(VALU_DEP_1)
	;; [unrolled: 5-line block ×4, first 2 shown]
	v_add_f64 v[0:1], v[4:5], v[0:1]
	v_fma_f64 v[4:5], v[37:38], s[28:29], -v[130:131]
	v_add_f64 v[2:3], v[4:5], v[2:3]
	v_fma_f64 v[4:5], v[69:70], s[42:43], v[132:133]
	s_delay_alu instid0(VALU_DEP_2) | instskip(NEXT) | instid1(VALU_DEP_2)
	v_add_f64 v[132:133], v[6:7], v[2:3]
	v_add_f64 v[130:131], v[4:5], v[0:1]
	v_fma_f64 v[0:1], v[55:56], s[58:59], v[245:246]
	v_fma_f64 v[2:3], v[53:54], s[20:21], -v[247:248]
	v_fma_f64 v[4:5], v[57:58], s[16:17], v[249:250]
	v_fma_f64 v[6:7], v[109:110], s[24:25], -v[61:62]
	s_delay_alu instid0(VALU_DEP_4) | instskip(NEXT) | instid1(VALU_DEP_4)
	v_add_f64 v[0:1], v[0:1], v[93:94]
	v_add_f64 v[2:3], v[2:3], v[95:96]
	s_delay_alu instid0(VALU_DEP_2) | instskip(SKIP_1) | instid1(VALU_DEP_1)
	v_add_f64 v[0:1], v[4:5], v[0:1]
	v_fma_f64 v[4:5], v[51:52], s[18:19], -v[251:252]
	v_add_f64 v[2:3], v[4:5], v[2:3]
	v_fma_f64 v[4:5], v[49:50], s[56:57], v[253:254]
	s_delay_alu instid0(VALU_DEP_1) | instskip(SKIP_1) | instid1(VALU_DEP_1)
	v_add_f64 v[0:1], v[4:5], v[0:1]
	v_fma_f64 v[4:5], v[39:40], s[22:23], -v[239:240]
	v_add_f64 v[2:3], v[4:5], v[2:3]
	v_fma_f64 v[4:5], v[35:36], s[30:31], v[41:42]
	s_delay_alu instid0(VALU_DEP_1) | instskip(SKIP_1) | instid1(VALU_DEP_1)
	v_add_f64 v[0:1], v[4:5], v[0:1]
	v_fma_f64 v[4:5], v[27:28], s[14:15], -v[43:44]
	v_add_f64 v[2:3], v[4:5], v[2:3]
	v_fma_f64 v[4:5], v[29:30], s[42:43], v[45:46]
	s_delay_alu instid0(VALU_DEP_1) | instskip(SKIP_1) | instid1(VALU_DEP_1)
	v_add_f64 v[0:1], v[4:5], v[0:1]
	v_fma_f64 v[4:5], v[31:32], s[34:35], -v[47:48]
	v_add_f64 v[2:3], v[4:5], v[2:3]
	v_fma_f64 v[4:5], v[33:34], s[52:53], v[59:60]
	s_delay_alu instid0(VALU_DEP_1) | instskip(SKIP_1) | instid1(VALU_DEP_1)
	v_add_f64 v[0:1], v[4:5], v[0:1]
	v_fma_f64 v[4:5], v[37:38], s[10:11], -v[65:66]
	v_add_f64 v[2:3], v[4:5], v[2:3]
	v_fma_f64 v[4:5], v[69:70], s[38:39], v[63:64]
	s_delay_alu instid0(VALU_DEP_2)
	v_add_f64 v[136:137], v[6:7], v[2:3]
	scratch_load_b64 v[2:3], off, off offset:172 ; 8-byte Folded Reload
	v_add_f64 v[134:135], v[4:5], v[0:1]
	scratch_load_b64 v[4:5], off, off offset:164 ; 8-byte Folded Reload
	v_fma_f64 v[0:1], v[55:56], s[30:31], v[215:216]
	v_fma_f64 v[6:7], v[109:110], s[18:19], -v[243:244]
	s_waitcnt vmcnt(1)
	s_delay_alu instid0(VALU_DEP_2) | instskip(SKIP_2) | instid1(VALU_DEP_1)
	v_add_f64 v[0:1], v[0:1], v[2:3]
	v_fma_f64 v[2:3], v[53:54], s[14:15], -v[217:218]
	s_waitcnt vmcnt(0)
	v_add_f64 v[2:3], v[2:3], v[4:5]
	v_fma_f64 v[4:5], v[57:58], s[50:51], v[219:220]
	s_delay_alu instid0(VALU_DEP_1) | instskip(SKIP_1) | instid1(VALU_DEP_1)
	v_add_f64 v[0:1], v[4:5], v[0:1]
	v_fma_f64 v[4:5], v[51:52], s[28:29], -v[221:222]
	v_add_f64 v[2:3], v[4:5], v[2:3]
	v_fma_f64 v[4:5], v[49:50], s[12:13], v[223:224]
	s_delay_alu instid0(VALU_DEP_1) | instskip(SKIP_1) | instid1(VALU_DEP_1)
	v_add_f64 v[0:1], v[4:5], v[0:1]
	v_fma_f64 v[4:5], v[39:40], s[10:11], -v[225:226]
	v_add_f64 v[2:3], v[4:5], v[2:3]
	v_fma_f64 v[4:5], v[35:36], s[56:57], v[227:228]
	s_delay_alu instid0(VALU_DEP_1) | instskip(SKIP_1) | instid1(VALU_DEP_1)
	v_add_f64 v[0:1], v[4:5], v[0:1]
	v_fma_f64 v[4:5], v[27:28], s[22:23], -v[229:230]
	v_add_f64 v[2:3], v[4:5], v[2:3]
	v_fma_f64 v[4:5], v[29:30], s[36:37], v[231:232]
	s_delay_alu instid0(VALU_DEP_1) | instskip(SKIP_1) | instid1(VALU_DEP_1)
	v_add_f64 v[0:1], v[4:5], v[0:1]
	v_fma_f64 v[4:5], v[31:32], s[20:21], -v[233:234]
	v_add_f64 v[2:3], v[4:5], v[2:3]
	v_fma_f64 v[4:5], v[33:34], s[46:47], v[235:236]
	s_delay_alu instid0(VALU_DEP_1) | instskip(SKIP_1) | instid1(VALU_DEP_1)
	v_add_f64 v[0:1], v[4:5], v[0:1]
	v_fma_f64 v[4:5], v[37:38], s[24:25], -v[237:238]
	v_add_f64 v[2:3], v[4:5], v[2:3]
	v_fma_f64 v[4:5], v[69:70], s[16:17], v[241:242]
	s_delay_alu instid0(VALU_DEP_2)
	v_add_f64 v[95:96], v[6:7], v[2:3]
	scratch_load_b64 v[2:3], off, off offset:156 ; 8-byte Folded Reload
	v_add_f64 v[93:94], v[4:5], v[0:1]
	scratch_load_b64 v[4:5], off, off offset:148 ; 8-byte Folded Reload
	v_fma_f64 v[0:1], v[55:56], s[38:39], v[142:143]
	v_fma_f64 v[6:7], v[109:110], s[20:21], -v[180:181]
	s_waitcnt vmcnt(1)
	s_delay_alu instid0(VALU_DEP_2) | instskip(SKIP_2) | instid1(VALU_DEP_1)
	v_add_f64 v[0:1], v[0:1], v[2:3]
	v_fma_f64 v[2:3], v[53:54], s[24:25], -v[144:145]
	s_waitcnt vmcnt(0)
	v_add_f64 v[2:3], v[2:3], v[4:5]
	v_fma_f64 v[4:5], v[57:58], s[60:61], v[148:149]
	s_delay_alu instid0(VALU_DEP_1) | instskip(SKIP_1) | instid1(VALU_DEP_1)
	;; [unrolled: 39-line block ×3, first 2 shown]
	v_add_f64 v[0:1], v[4:5], v[0:1]
	v_fma_f64 v[4:5], v[51:52], s[24:25], -v[71:72]
	v_add_f64 v[2:3], v[4:5], v[2:3]
	v_fma_f64 v[4:5], v[49:50], s[30:31], v[105:106]
	s_delay_alu instid0(VALU_DEP_1) | instskip(SKIP_1) | instid1(VALU_DEP_1)
	v_add_f64 v[0:1], v[4:5], v[0:1]
	v_fma_f64 v[4:5], v[39:40], s[14:15], -v[107:108]
	v_add_f64 v[2:3], v[4:5], v[2:3]
	v_fma_f64 v[4:5], v[35:36], s[58:59], v[67:68]
	s_delay_alu instid0(VALU_DEP_1) | instskip(SKIP_1) | instid1(VALU_DEP_1)
	;; [unrolled: 5-line block ×4, first 2 shown]
	v_add_f64 v[0:1], v[4:5], v[0:1]
	v_fma_f64 v[4:5], v[37:38], s[22:23], -v[120:121]
	v_add_f64 v[2:3], v[4:5], v[2:3]
	v_fma_f64 v[4:5], v[69:70], s[12:13], v[122:123]
	s_delay_alu instid0(VALU_DEP_2) | instskip(NEXT) | instid1(VALU_DEP_2)
	v_add_f64 v[99:100], v[6:7], v[2:3]
	v_add_f64 v[97:98], v[4:5], v[0:1]
	s_clause 0x3
	scratch_load_b64 v[0:1], off, off offset:44
	scratch_load_b64 v[4:5], off, off offset:4
	;; [unrolled: 1-line block ×4, first 2 shown]
	s_waitcnt vmcnt(3)
	v_fma_f64 v[0:1], v[55:56], s[54:55], v[0:1]
	s_waitcnt vmcnt(2)
	s_delay_alu instid0(VALU_DEP_1) | instskip(SKIP_4) | instid1(VALU_DEP_1)
	v_add_f64 v[0:1], v[0:1], v[4:5]
	scratch_load_b64 v[4:5], off, off offset:12 ; 8-byte Folded Reload
	s_waitcnt vmcnt(2)
	v_fma_f64 v[2:3], v[53:54], s[18:19], -v[2:3]
	s_waitcnt vmcnt(0)
	v_add_f64 v[2:3], v[2:3], v[4:5]
	scratch_load_b64 v[4:5], off, off offset:60 ; 8-byte Folded Reload
	s_waitcnt vmcnt(0)
	v_fma_f64 v[4:5], v[57:58], s[56:57], v[4:5]
	s_delay_alu instid0(VALU_DEP_1) | instskip(SKIP_3) | instid1(VALU_DEP_1)
	v_add_f64 v[0:1], v[4:5], v[0:1]
	scratch_load_b64 v[4:5], off, off offset:76 ; 8-byte Folded Reload
	s_waitcnt vmcnt(0)
	v_fma_f64 v[4:5], v[49:50], s[44:45], v[4:5]
	v_add_f64 v[0:1], v[4:5], v[0:1]
	scratch_load_b64 v[4:5], off, off offset:92 ; 8-byte Folded Reload
	s_waitcnt vmcnt(0)
	v_fma_f64 v[4:5], v[35:36], s[40:41], v[4:5]
	s_delay_alu instid0(VALU_DEP_1) | instskip(SKIP_3) | instid1(VALU_DEP_1)
	v_add_f64 v[0:1], v[4:5], v[0:1]
	scratch_load_b64 v[4:5], off, off offset:108 ; 8-byte Folded Reload
	s_waitcnt vmcnt(0)
	v_fma_f64 v[4:5], v[29:30], s[38:39], v[4:5]
	;; [unrolled: 9-line block ×3, first 2 shown]
	v_add_f64 v[25:26], v[4:5], v[0:1]
	scratch_load_b32 v1, off, off           ; 4-byte Folded Reload
	v_fma_f64 v[6:7], v[51:52], s[22:23], -v[6:7]
	v_mul_u32_u24_e32 v0, 0x770, v186
	s_delay_alu instid0(VALU_DEP_2) | instskip(SKIP_3) | instid1(VALU_DEP_1)
	v_add_f64 v[2:3], v[6:7], v[2:3]
	scratch_load_b64 v[6:7], off, off offset:84 ; 8-byte Folded Reload
	s_waitcnt vmcnt(1)
	v_lshlrev_b32_e32 v114, 4, v1
	v_add3_u32 v0, 0, v0, v114
	s_waitcnt vmcnt(0)
	v_fma_f64 v[6:7], v[39:40], s[34:35], -v[6:7]
	s_delay_alu instid0(VALU_DEP_1) | instskip(SKIP_3) | instid1(VALU_DEP_1)
	v_add_f64 v[2:3], v[6:7], v[2:3]
	scratch_load_b64 v[6:7], off, off offset:100 ; 8-byte Folded Reload
	s_waitcnt vmcnt(0)
	v_fma_f64 v[6:7], v[27:28], s[28:29], -v[6:7]
	v_add_f64 v[2:3], v[6:7], v[2:3]
	scratch_load_b64 v[6:7], off, off offset:116 ; 8-byte Folded Reload
	s_waitcnt vmcnt(0)
	v_fma_f64 v[6:7], v[31:32], s[24:25], -v[6:7]
	s_delay_alu instid0(VALU_DEP_1) | instskip(SKIP_3) | instid1(VALU_DEP_1)
	v_add_f64 v[2:3], v[6:7], v[2:3]
	scratch_load_b64 v[6:7], off, off offset:132 ; 8-byte Folded Reload
	s_waitcnt vmcnt(0)
	v_fma_f64 v[6:7], v[37:38], s[20:21], -v[6:7]
	v_add_f64 v[2:3], v[6:7], v[2:3]
	v_fma_f64 v[6:7], v[109:110], s[14:15], -v[87:88]
	s_delay_alu instid0(VALU_DEP_1)
	v_add_f64 v[27:28], v[6:7], v[2:3]
	ds_store_b128 v0, v[182:185]
	ds_store_b128 v0, v[101:104] offset:112
	ds_store_b128 v0, v[81:84] offset:224
	ds_store_b128 v0, v[77:80] offset:336
	ds_store_b128 v0, v[73:76] offset:448
	ds_store_b128 v0, v[211:214] offset:560
	ds_store_b128 v0, v[187:190] offset:672
	ds_store_b128 v0, v[195:198] offset:784
	ds_store_b128 v0, v[126:129] offset:896
	ds_store_b128 v0, v[130:133] offset:1008
	ds_store_b128 v0, v[199:202] offset:1120
	ds_store_b128 v0, v[191:194] offset:1232
	ds_store_b128 v0, v[134:137] offset:1344
	ds_store_b128 v0, v[93:96] offset:1456
	ds_store_b128 v0, v[89:92] offset:1568
	ds_store_b128 v0, v[97:100] offset:1680
	ds_store_b128 v0, v[25:28] offset:1792
	s_waitcnt lgkmcnt(0)
	s_waitcnt_vscnt null, 0x0
	s_barrier
	buffer_gl0_inv
	s_and_saveexec_b32 s62, s33
	s_cbranch_execz .LBB0_16
; %bb.15:
	v_mul_lo_u16 v0, v186, 31
	s_movk_i32 s33, 0xff0
	s_lshl_b64 s[2:3], s[2:3], 4
	s_delay_alu instid0(SALU_CYCLE_1) | instskip(NEXT) | instid1(VALU_DEP_1)
	s_add_u32 s0, s0, s2
	v_lshrrev_b16 v0, 9, v0
	s_addc_u32 s1, s1, s3
	s_delay_alu instid0(VALU_DEP_1) | instskip(NEXT) | instid1(VALU_DEP_1)
	v_mul_lo_u16 v0, v0, 17
	v_sub_nc_u16 v0, v186, v0
	s_delay_alu instid0(VALU_DEP_1) | instskip(NEXT) | instid1(VALU_DEP_1)
	v_and_b32_e32 v5, 0xff, v0
	v_dual_mov_b32 v7, v5 :: v_dual_lshlrev_b32 v0, 8, v5
	s_clause 0x9
	global_load_b128 v[69:72], v0, s[48:49] offset:64
	global_load_b128 v[77:80], v0, s[48:49] offset:176
	;; [unrolled: 1-line block ×6, first 2 shown]
	global_load_b128 v[89:92], v0, s[48:49]
	global_load_b128 v[93:96], v0, s[48:49] offset:240
	global_load_b128 v[9:12], v0, s[48:49] offset:80
	;; [unrolled: 1-line block ×3, first 2 shown]
	scratch_store_b32 off, v7, off offset:172 ; 4-byte Folded Spill
	s_clause 0x4
	global_load_b128 v[85:88], v0, s[48:49] offset:112
	global_load_b128 v[73:76], v0, s[48:49] offset:96
	global_load_b128 v[13:16], v0, s[48:49] offset:160
	global_load_b128 v[65:68], v0, s[48:49] offset:144
	global_load_b128 v[81:84], v0, s[48:49] offset:128
	v_add_nc_u32_e32 v5, 0x110, v7
	v_add_nc_u32_e32 v6, 0xff, v7
	v_add_nc_u32_e32 v17, 0xee, v7
	v_add_nc_u32_e32 v18, 0xdd, v7
	v_add_nc_u32_e32 v19, 0xcc, v7
	v_add_nc_u32_e32 v20, 0xbb, v7
	v_mul_lo_u32 v21, v113, v5
	v_mul_lo_u32 v22, v113, v6
	global_load_b128 v[5:8], v0, s[48:49] offset:224
	v_mul_lo_u32 v0, v113, v17
	v_mul_lo_u32 v17, v113, v18
	;; [unrolled: 1-line block ×4, first 2 shown]
	v_and_b32_e32 v20, 0xff, v21
	v_lshrrev_b32_e32 v21, 4, v21
	v_and_b32_e32 v23, 0xff, v22
	v_and_b32_e32 v24, 0xff, v0
	v_lshrrev_b32_e32 v22, 4, v22
	v_lshrrev_b32_e32 v0, 4, v0
	v_and_b32_e32 v25, 0xff, v17
	v_lshrrev_b32_e32 v17, 4, v17
	v_and_b32_e32 v26, 0xff, v18
	;; [unrolled: 2-line block ×3, first 2 shown]
	v_lshrrev_b32_e32 v33, 4, v19
	v_lshlrev_b32_e32 v19, 4, v20
	v_and_or_b32 v21, v21, s33, 0x1000
	v_lshlrev_b32_e32 v23, 4, v23
	v_lshlrev_b32_e32 v34, 4, v24
	v_and_or_b32 v29, v22, s33, 0x1000
	v_and_or_b32 v0, v0, s33, 0x1000
	v_lshlrev_b32_e32 v37, 4, v25
	v_and_or_b32 v41, v17, s33, 0x1000
	v_lshlrev_b32_e32 v42, 4, v26
	v_and_or_b32 v45, v18, s33, 0x1000
	v_lshlrev_b32_e32 v46, 4, v27
	s_clause 0x3
	global_load_b128 v[17:20], v19, s[8:9]
	global_load_b128 v[25:28], v21, s[8:9]
	global_load_b128 v[21:24], v23, s[8:9]
	global_load_b128 v[29:32], v29, s[8:9]
	v_and_or_b32 v61, v33, s33, 0x1000
	s_clause 0x7
	global_load_b128 v[33:36], v34, s[8:9]
	global_load_b128 v[49:52], v0, s[8:9]
	;; [unrolled: 1-line block ×8, first 2 shown]
	v_mul_u32_u24_e32 v0, 0x70, v186
	s_delay_alu instid0(VALU_DEP_1)
	v_add3_u32 v0, 0, v0, v114
	ds_load_b128 v[114:117], v0 offset:9520
	ds_load_b128 v[118:121], v0 offset:22848
	;; [unrolled: 1-line block ×16, first 2 shown]
	s_waitcnt vmcnt(27) lgkmcnt(15)
	v_mul_f64 v[178:179], v[114:115], v[71:72]
	s_waitcnt vmcnt(26) lgkmcnt(14)
	v_mul_f64 v[180:181], v[118:119], v[79:80]
	;; [unrolled: 2-line block ×8, first 2 shown]
	v_mul_f64 v[194:195], v[116:117], v[71:72]
	s_waitcnt vmcnt(17) lgkmcnt(5)
	v_mul_f64 v[196:197], v[154:155], v[87:88]
	v_mul_f64 v[202:203], v[156:157], v[87:88]
	;; [unrolled: 1-line block ×3, first 2 shown]
	s_waitcnt vmcnt(13) lgkmcnt(4)
	v_mul_f64 v[200:201], v[158:159], v[83:84]
	v_mul_f64 v[103:104], v[132:133], v[103:104]
	;; [unrolled: 1-line block ×8, first 2 shown]
	s_waitcnt lgkmcnt(3)
	v_mul_f64 v[206:207], v[162:163], v[75:76]
	v_mul_f64 v[75:76], v[164:165], v[75:76]
	v_fma_f64 v[240:241], v[116:117], v[69:70], v[178:179]
	v_fma_f64 v[87:88], v[120:121], v[77:78], v[180:181]
	;; [unrolled: 1-line block ×5, first 2 shown]
	s_waitcnt lgkmcnt(2)
	v_mul_f64 v[132:133], v[166:167], v[11:12]
	v_fma_f64 v[124:125], v[140:141], v[89:90], v[190:191]
	v_mul_f64 v[140:141], v[168:169], v[11:12]
	v_mul_f64 v[178:179], v[146:147], v[3:4]
	;; [unrolled: 1-line block ×3, first 2 shown]
	s_waitcnt vmcnt(10)
	v_mul_f64 v[186:187], v[19:20], v[27:28]
	s_waitcnt vmcnt(4)
	v_mul_f64 v[214:215], v[39:40], v[55:56]
	v_mul_f64 v[11:12], v[37:38], v[55:56]
	v_fma_f64 v[55:56], v[160:161], v[81:82], v[200:201]
	v_fma_f64 v[79:80], v[136:137], v[97:98], v[188:189]
	;; [unrolled: 1-line block ×3, first 2 shown]
	v_fma_f64 v[220:221], v[114:115], v[69:70], -v[194:195]
	v_mul_f64 v[192:193], v[35:36], v[51:52]
	v_mul_f64 v[194:195], v[33:34], v[51:52]
	v_fma_f64 v[51:52], v[126:127], v[105:106], -v[107:108]
	v_fma_f64 v[126:127], v[130:131], v[101:102], -v[103:104]
	v_mul_f64 v[188:189], v[17:18], v[27:28]
	v_fma_f64 v[27:28], v[118:119], v[77:78], -v[198:199]
	ds_load_b128 v[118:121], v0
	v_fma_f64 v[252:253], v[156:157], v[85:86], v[196:197]
	v_fma_f64 v[200:201], v[154:155], v[85:86], -v[202:203]
	v_fma_f64 v[69:70], v[134:135], v[97:98], -v[208:209]
	v_mul_f64 v[180:181], v[150:151], v[7:8]
	v_mul_f64 v[3:4], v[152:153], v[7:8]
	;; [unrolled: 1-line block ×4, first 2 shown]
	s_waitcnt lgkmcnt(2)
	v_mul_f64 v[116:117], v[170:171], v[67:68]
	s_waitcnt vmcnt(2)
	v_mul_f64 v[198:199], v[43:44], v[59:60]
	s_waitcnt lgkmcnt(1)
	v_mul_f64 v[144:145], v[176:177], v[15:16]
	v_mul_f64 v[216:217], v[41:42], v[59:60]
	v_fma_f64 v[130:131], v[138:139], v[89:90], -v[210:211]
	v_mul_f64 v[136:137], v[174:175], v[15:16]
	s_waitcnt vmcnt(0)
	v_mul_f64 v[218:219], v[47:48], v[63:64]
	v_fma_f64 v[15:16], v[142:143], v[93:94], -v[212:213]
	v_dual_mov_b32 v102, v88 :: v_dual_mov_b32 v101, v87
	v_mov_b32_e32 v191, v84
	v_add_f64 v[138:139], v[254:255], v[83:84]
	v_mov_b32_e32 v190, v83
	v_fma_f64 v[93:94], v[168:169], v[9:10], v[132:133]
	v_fma_f64 v[95:96], v[166:167], v[9:10], -v[140:141]
	v_mul_f64 v[128:129], v[172:173], v[67:68]
	v_fma_f64 v[85:86], v[146:147], v[1:2], -v[182:183]
	scratch_store_b64 off, v[101:102], off offset:216 ; 8-byte Folded Spill
	v_fma_f64 v[99:100], v[122:123], v[109:110], -v[111:112]
	v_mul_f64 v[122:123], v[45:46], v[63:64]
	scratch_store_b64 off, v[55:56], off offset:208 ; 8-byte Folded Spill
	v_fma_f64 v[55:56], v[158:159], v[81:82], -v[204:205]
	v_fma_f64 v[81:82], v[148:149], v[1:2], v[178:179]
	v_fma_f64 v[0:1], v[17:18], v[25:26], -v[186:187]
	v_dual_mov_b32 v98, v80 :: v_dual_mov_b32 v97, v79
	s_clause 0x1
	scratch_store_b64 off, v[97:98], off offset:140
	scratch_store_b64 off, v[71:72], off offset:12
	v_dual_mov_b32 v84, v52 :: v_dual_mov_b32 v83, v51
	v_add_f64 v[134:135], v[240:241], v[87:88]
	v_dual_mov_b32 v17, v27 :: v_dual_mov_b32 v18, v28
	v_add_f64 v[156:157], v[124:125], v[71:72]
	v_add_f64 v[160:161], v[124:125], -v[71:72]
	v_fma_f64 v[59:60], v[150:151], v[5:6], -v[3:4]
	v_add_f64 v[142:143], v[184:185], v[79:80]
	v_fma_f64 v[9:10], v[174:175], v[13:14], -v[144:145]
	v_fma_f64 v[103:104], v[162:163], v[73:74], -v[75:76]
	v_fma_f64 v[105:106], v[164:165], v[73:74], v[206:207]
	s_clause 0x1
	scratch_store_b64 off, v[83:84], off offset:164
	scratch_store_b64 off, v[17:18], off offset:124
	v_mul_f64 v[140:141], v[138:139], s[10:11]
	v_mul_f64 v[174:175], v[138:139], s[20:21]
	scratch_store_b64 off, v[55:56], off offset:224 ; 8-byte Folded Spill
	v_fma_f64 v[55:56], v[172:173], v[65:66], v[116:117]
	scratch_store_b64 off, v[0:1], off offset:28 ; 8-byte Folded Spill
	v_fma_f64 v[0:1], v[19:20], v[25:26], v[188:189]
	v_add_f64 v[19:20], v[220:221], -v[17:18]
	v_add_f64 v[25:26], v[130:131], -v[15:16]
	v_mul_f64 v[150:151], v[134:135], s[14:15]
	v_mul_f64 v[172:173], v[134:135], s[34:35]
	;; [unrolled: 1-line block ×14, first 2 shown]
	scratch_store_b64 off, v[0:1], off offset:200 ; 8-byte Folded Spill
	v_fma_f64 v[0:1], v[21:22], v[29:30], -v[7:8]
	v_add_f64 v[21:22], v[99:100], -v[51:52]
	s_waitcnt lgkmcnt(0)
	v_add_f64 v[51:52], v[120:121], v[124:125]
	v_mul_f64 v[124:125], v[138:139], s[28:29]
	v_fma_f64 v[224:225], v[25:26], s[50:51], v[154:155]
	v_fma_f64 v[228:229], v[25:26], s[46:47], v[162:163]
	;; [unrolled: 1-line block ×6, first 2 shown]
	scratch_store_b64 off, v[0:1], off offset:184 ; 8-byte Folded Spill
	v_fma_f64 v[0:1], v[23:24], v[29:30], v[114:115]
	v_add_f64 v[23:24], v[126:127], -v[69:70]
	v_add_f64 v[29:30], v[130:131], v[15:16]
	v_fma_f64 v[242:243], v[21:22], s[58:59], v[174:175]
	v_add_f64 v[224:225], v[120:121], v[224:225]
	v_add_f64 v[228:229], v[120:121], v[228:229]
	v_add_f64 v[232:233], v[120:121], v[232:233]
	v_add_f64 v[166:167], v[120:121], v[166:167]
	v_add_f64 v[162:163], v[120:121], v[162:163]
	v_add_f64 v[154:155], v[120:121], v[154:155]
	scratch_store_b64 off, v[0:1], off offset:192 ; 8-byte Folded Spill
	v_fma_f64 v[0:1], v[33:34], v[49:50], -v[192:193]
	v_fma_f64 v[250:251], v[23:24], s[42:43], v[182:183]
	v_fma_f64 v[192:193], v[21:22], s[50:51], v[124:125]
	;; [unrolled: 1-line block ×6, first 2 shown]
	v_fma_f64 v[168:169], v[29:30], s[20:21], -v[168:169]
	v_fma_f64 v[164:165], v[29:30], s[24:25], -v[164:165]
	;; [unrolled: 1-line block ×4, first 2 shown]
	scratch_store_b64 off, v[0:1], off offset:76 ; 8-byte Folded Spill
	v_fma_f64 v[0:1], v[35:36], v[49:50], v[194:195]
	v_mul_f64 v[49:50], v[138:139], s[14:15]
	v_add_f64 v[208:209], v[118:119], v[208:209]
	v_add_f64 v[226:227], v[118:119], v[226:227]
	;; [unrolled: 1-line block ×8, first 2 shown]
	scratch_store_b64 off, v[0:1], off offset:92 ; 8-byte Folded Spill
	v_fma_f64 v[0:1], v[37:38], v[53:54], -v[214:215]
	scratch_store_b64 off, v[55:56], off offset:232 ; 8-byte Folded Spill
	v_fma_f64 v[55:56], v[170:171], v[65:66], -v[128:129]
	v_mul_f64 v[37:38], v[134:135], s[28:29]
	v_mul_f64 v[128:129], v[142:143], s[14:15]
	v_mul_f64 v[170:171], v[142:143], s[18:19]
	v_fma_f64 v[214:215], v[23:24], s[40:41], v[144:145]
	v_fma_f64 v[202:203], v[21:22], s[30:31], v[49:50]
	;; [unrolled: 1-line block ×3, first 2 shown]
	scratch_store_b64 off, v[0:1], off offset:44 ; 8-byte Folded Spill
	v_fma_f64 v[0:1], v[39:40], v[53:54], v[11:12]
	v_mul_f64 v[39:40], v[138:139], s[34:35]
	v_mul_f64 v[53:54], v[142:143], s[24:25]
	v_fma_f64 v[204:205], v[23:24], s[30:31], v[128:129]
	v_fma_f64 v[89:90], v[23:24], s[54:55], v[170:171]
	;; [unrolled: 1-line block ×4, first 2 shown]
	scratch_store_b64 off, v[0:1], off offset:84 ; 8-byte Folded Spill
	v_fma_f64 v[0:1], v[41:42], v[57:58], -v[198:199]
	v_mul_f64 v[41:42], v[142:143], s[22:23]
	v_fma_f64 v[222:223], v[21:22], s[44:45], v[39:40]
	v_fma_f64 v[91:92], v[23:24], s[38:39], v[53:54]
	scratch_store_b64 off, v[0:1], off offset:20 ; 8-byte Folded Spill
	v_fma_f64 v[0:1], v[43:44], v[57:58], v[216:217]
	scratch_store_b64 off, v[9:10], off offset:248 ; 8-byte Folded Spill
	v_fma_f64 v[9:10], v[152:153], v[5:6], v[180:181]
	v_mul_f64 v[152:153], v[138:139], s[22:23]
	v_mul_f64 v[43:44], v[156:157], s[10:11]
	;; [unrolled: 1-line block ×5, first 2 shown]
	v_fma_f64 v[216:217], v[25:26], s[42:43], v[146:147]
	v_fma_f64 v[146:147], v[25:26], s[44:45], v[146:147]
	;; [unrolled: 1-line block ×3, first 2 shown]
	scratch_store_b64 off, v[0:1], off offset:68 ; 8-byte Folded Spill
	v_fma_f64 v[0:1], v[45:46], v[61:62], -v[218:219]
	v_mul_f64 v[45:46], v[160:161], s[52:53]
	v_fma_f64 v[218:219], v[29:30], s[34:35], v[148:149]
	v_fma_f64 v[186:187], v[25:26], s[12:13], v[43:44]
	;; [unrolled: 1-line block ×7, first 2 shown]
	v_add_f64 v[216:217], v[120:121], v[216:217]
	v_add_f64 v[146:147], v[120:121], v[146:147]
	v_fma_f64 v[248:249], v[21:22], s[38:39], v[180:181]
	v_fma_f64 v[148:149], v[29:30], s[34:35], -v[148:149]
	scratch_store_b64 off, v[0:1], off offset:4 ; 8-byte Folded Spill
	v_fma_f64 v[0:1], v[47:48], v[61:62], v[122:123]
	scratch_store_b64 off, v[55:56], off offset:240 ; 8-byte Folded Spill
	v_fma_f64 v[55:56], v[176:177], v[13:14], v[136:137]
	v_mul_f64 v[47:48], v[134:135], s[20:21]
	v_mul_f64 v[122:123], v[134:135], s[18:19]
	;; [unrolled: 1-line block ×7, first 2 shown]
	v_add_f64 v[186:187], v[120:121], v[186:187]
	v_add_f64 v[196:197], v[120:121], v[196:197]
	v_add_f64 v[73:74], v[120:121], v[57:58]
	v_mul_f64 v[160:161], v[160:161], s[30:31]
	v_fma_f64 v[188:189], v[29:30], s[10:11], v[45:46]
	v_add_f64 v[218:219], v[118:119], v[218:219]
	v_add_f64 v[148:149], v[118:119], v[148:149]
	scratch_store_b64 off, v[0:1], off offset:60 ; 8-byte Folded Spill
	v_fma_f64 v[0:1], v[19:20], s[50:51], v[37:38]
	s_clause 0x2
	scratch_store_b64 off, v[55:56], off offset:256
	scratch_store_b64 off, v[69:70], off offset:148
	;; [unrolled: 1-line block ×3, first 2 shown]
	v_add_f64 v[55:56], v[118:119], v[130:131]
	v_mul_f64 v[130:131], v[156:157], s[22:23]
	v_mul_f64 v[156:157], v[156:157], s[14:15]
	v_dual_mov_b32 v15, v10 :: v_dual_mov_b32 v14, v9
	v_fma_f64 v[244:245], v[23:24], s[12:13], v[176:177]
	v_fma_f64 v[198:199], v[29:30], s[18:19], v[61:62]
	v_fma_f64 v[61:62], v[29:30], s[18:19], -v[61:62]
	v_fma_f64 v[79:80], v[23:24], s[58:59], v[142:143]
	v_fma_f64 v[142:143], v[23:24], s[36:37], v[142:143]
	;; [unrolled: 1-line block ×3, first 2 shown]
	v_fma_f64 v[160:161], v[29:30], s[14:15], -v[160:161]
	v_fma_f64 v[29:30], v[29:30], s[10:11], -v[45:46]
	v_add_f64 v[188:189], v[118:119], v[188:189]
	scratch_store_b64 off, v[0:1], off offset:264 ; 8-byte Folded Spill
	v_fma_f64 v[0:1], v[21:22], s[42:43], v[39:40]
	v_fma_f64 v[206:207], v[25:26], s[26:27], v[130:131]
	;; [unrolled: 1-line block ×6, first 2 shown]
	v_add_f64 v[198:199], v[118:119], v[198:199]
	v_add_f64 v[77:78], v[118:119], v[61:62]
	;; [unrolled: 1-line block ×5, first 2 shown]
	scratch_store_b64 off, v[0:1], off offset:384 ; 8-byte Folded Spill
	v_fma_f64 v[0:1], v[19:20], s[36:37], v[47:48]
	v_add_f64 v[206:207], v[120:121], v[206:207]
	v_add_f64 v[236:237], v[120:121], v[236:237]
	;; [unrolled: 1-line block ×5, first 2 shown]
	scratch_store_b64 off, v[0:1], off offset:272 ; 8-byte Folded Spill
	v_fma_f64 v[0:1], v[21:22], s[60:61], v[49:50]
	scratch_store_b64 off, v[0:1], off offset:392 ; 8-byte Folded Spill
	v_fma_f64 v[0:1], v[19:20], s[54:55], v[122:123]
	;; [unrolled: 2-line block ×5, first 2 shown]
	v_fma_f64 v[140:141], v[21:22], s[12:13], v[140:141]
	scratch_store_b64 off, v[0:1], off offset:408 ; 8-byte Folded Spill
	v_fma_f64 v[0:1], v[19:20], s[60:61], v[150:151]
	scratch_store_b64 off, v[0:1], off offset:296 ; 8-byte Folded Spill
	v_fma_f64 v[0:1], v[21:22], s[26:27], v[152:153]
	v_fma_f64 v[152:153], v[23:24], s[52:53], v[176:177]
	;; [unrolled: 1-line block ×3, first 2 shown]
	v_add_f64 v[41:42], v[81:82], v[14:15]
	scratch_store_b64 off, v[0:1], off offset:416 ; 8-byte Folded Spill
	v_fma_f64 v[0:1], v[19:20], s[44:45], v[172:173]
	v_mul_f64 v[120:121], v[41:42], s[18:19]
	v_mul_f64 v[4:5], v[41:42], s[28:29]
	;; [unrolled: 1-line block ×3, first 2 shown]
	scratch_store_b64 off, v[0:1], off offset:312 ; 8-byte Folded Spill
	v_fma_f64 v[0:1], v[19:20], s[12:13], v[178:179]
	scratch_store_b64 off, v[0:1], off offset:304 ; 8-byte Folded Spill
	v_fma_f64 v[0:1], v[19:20], s[46:47], v[134:135]
	;; [unrolled: 2-line block ×3, first 2 shown]
	v_fma_f64 v[134:135], v[21:22], s[46:47], v[180:181]
	v_mul_f64 v[180:181], v[41:42], s[14:15]
	scratch_store_b64 off, v[0:1], off offset:368 ; 8-byte Folded Spill
	v_fma_f64 v[0:1], v[19:20], s[52:53], v[178:179]
	v_mul_f64 v[178:179], v[41:42], s[24:25]
	scratch_store_b64 off, v[0:1], off offset:360 ; 8-byte Folded Spill
	v_fma_f64 v[0:1], v[19:20], s[42:43], v[172:173]
	scratch_store_b64 off, v[0:1], off offset:352 ; 8-byte Folded Spill
	v_fma_f64 v[0:1], v[19:20], s[30:31], v[150:151]
	v_fma_f64 v[150:151], v[23:24], s[44:45], v[182:183]
	v_mul_f64 v[182:183], v[41:42], s[20:21]
	scratch_store_b64 off, v[0:1], off offset:344 ; 8-byte Folded Spill
	v_fma_f64 v[0:1], v[19:20], s[56:57], v[136:137]
	v_fma_f64 v[136:137], v[21:22], s[36:37], v[174:175]
	;; [unrolled: 1-line block ×3, first 2 shown]
	scratch_store_b64 off, v[0:1], off offset:336 ; 8-byte Folded Spill
	v_fma_f64 v[0:1], v[19:20], s[16:17], v[122:123]
	v_mul_f64 v[122:123], v[41:42], s[34:35]
	v_mul_f64 v[41:42], v[41:42], s[10:11]
	scratch_store_b64 off, v[0:1], off offset:328 ; 8-byte Folded Spill
	v_fma_f64 v[0:1], v[19:20], s[58:59], v[47:48]
	scratch_store_b64 off, v[0:1], off offset:320 ; 8-byte Folded Spill
	v_fma_f64 v[0:1], v[19:20], s[40:41], v[37:38]
	v_dual_mov_b32 v19, v59 :: v_dual_mov_b32 v20, v60
	s_clause 0x2
	scratch_store_b64 off, v[14:15], off offset:100
	scratch_store_b64 off, v[19:20], off offset:108
	;; [unrolled: 1-line block ×3, first 2 shown]
	v_add_f64 v[0:1], v[85:86], -v[19:20]
	s_delay_alu instid0(VALU_DEP_1)
	v_fma_f64 v[22:23], v[0:1], s[16:17], v[120:121]
	v_fma_f64 v[65:66], v[0:1], s[54:55], v[120:121]
	v_add_f64 v[120:121], v[240:241], -v[101:102]
	v_fma_f64 v[57:58], v[0:1], s[52:53], v[41:42]
	v_fma_f64 v[67:68], v[0:1], s[12:13], v[41:42]
	;; [unrolled: 1-line block ×14, first 2 shown]
	v_add_f64 v[0:1], v[220:221], v[17:18]
	v_add_f64 v[16:17], v[51:52], v[81:82]
	;; [unrolled: 1-line block ×6, first 2 shown]
	v_mul_f64 v[8:9], v[120:121], s[56:57]
	v_mul_f64 v[2:3], v[120:121], s[52:53]
	;; [unrolled: 1-line block ×8, first 2 shown]
	v_add_f64 v[38:39], v[38:39], v[224:225]
	v_add_f64 v[36:37], v[36:37], v[216:217]
	;; [unrolled: 1-line block ×19, first 2 shown]
	v_fma_f64 v[114:115], v[0:1], s[22:23], v[8:9]
	v_fma_f64 v[124:125], v[0:1], s[10:11], v[2:3]
	v_fma_f64 v[210:211], v[0:1], s[10:11], -v[2:3]
	v_fma_f64 v[2:3], v[0:1], s[22:23], -v[8:9]
	v_fma_f64 v[109:110], v[0:1], s[18:19], v[10:11]
	v_fma_f64 v[118:119], v[0:1], s[14:15], v[6:7]
	v_fma_f64 v[212:213], v[0:1], s[34:35], -v[4:5]
	v_fma_f64 v[172:173], v[0:1], s[24:25], v[120:121]
	v_fma_f64 v[194:195], v[0:1], s[24:25], -v[120:121]
	;; [unrolled: 2-line block ×3, first 2 shown]
	v_fma_f64 v[107:108], v[0:1], s[20:21], v[122:123]
	v_fma_f64 v[101:102], v[0:1], s[28:29], v[12:13]
	v_add_f64 v[26:27], v[174:175], v[26:27]
	v_add_f64 v[36:37], v[214:215], v[36:37]
	;; [unrolled: 1-line block ×4, first 2 shown]
	scratch_load_b64 v[91:92], off, off offset:256 ; 8-byte Folded Reload
	v_add_f64 v[59:60], v[152:153], v[59:60]
	v_add_f64 v[34:35], v[204:205], v[34:35]
	;; [unrolled: 1-line block ×3, first 2 shown]
	scratch_store_b64 off, v[2:3], off offset:432 ; 8-byte Folded Spill
	v_fma_f64 v[2:3], v[0:1], s[18:19], -v[10:11]
	v_add_f64 v[16:17], v[16:17], v[240:241]
	scratch_store_b64 off, v[2:3], off offset:424 ; 8-byte Folded Spill
	v_fma_f64 v[2:3], v[0:1], s[20:21], -v[122:123]
	v_fma_f64 v[0:1], v[0:1], s[28:29], -v[12:13]
	v_add_f64 v[12:13], v[81:82], -v[14:15]
	v_dual_mov_b32 v122, v190 :: v_dual_mov_b32 v123, v191
	s_clause 0x1
	scratch_store_b64 off, v[2:3], off offset:156
	scratch_store_b64 off, v[0:1], off offset:132
	v_mul_f64 v[81:82], v[12:13], s[12:13]
	v_mul_f64 v[85:86], v[12:13], s[26:27]
	;; [unrolled: 1-line block ×8, first 2 shown]
	v_fma_f64 v[24:25], v[55:56], s[10:11], v[81:82]
	v_fma_f64 v[81:82], v[55:56], s[10:11], -v[81:82]
	v_fma_f64 v[20:21], v[55:56], s[22:23], v[85:86]
	v_fma_f64 v[85:86], v[55:56], s[22:23], -v[85:86]
	;; [unrolled: 2-line block ×8, first 2 shown]
	v_add_f64 v[55:56], v[184:185], -v[97:98]
	v_add_f64 v[24:25], v[24:25], v[238:239]
	v_add_f64 v[81:82], v[81:82], v[160:161]
	;; [unrolled: 1-line block ×16, first 2 shown]
	v_mul_f64 v[196:197], v[55:56], s[50:51]
	v_mul_f64 v[184:185], v[55:56], s[56:57]
	;; [unrolled: 1-line block ×8, first 2 shown]
	v_add_f64 v[77:78], v[170:171], v[126:127]
	v_fma_f64 v[6:7], v[216:217], s[28:29], v[196:197]
	v_fma_f64 v[0:1], v[216:217], s[22:23], v[184:185]
	;; [unrolled: 1-line block ×5, first 2 shown]
	v_fma_f64 v[188:189], v[216:217], s[14:15], -v[188:189]
	v_fma_f64 v[186:187], v[216:217], s[24:25], -v[186:187]
	v_fma_f64 v[218:219], v[216:217], s[20:21], v[55:56]
	v_fma_f64 v[224:225], v[216:217], s[34:35], v[208:209]
	v_fma_f64 v[208:209], v[216:217], s[34:35], -v[208:209]
	v_fma_f64 v[55:56], v[216:217], s[20:21], -v[55:56]
	v_fma_f64 v[226:227], v[216:217], s[10:11], v[206:207]
	v_fma_f64 v[206:207], v[216:217], s[10:11], -v[206:207]
	v_fma_f64 v[196:197], v[216:217], s[28:29], -v[196:197]
	;; [unrolled: 1-line block ×3, first 2 shown]
	v_add_f64 v[77:78], v[138:139], v[77:78]
	v_fma_f64 v[184:185], v[216:217], s[22:23], -v[184:185]
	v_add_f64 v[6:7], v[6:7], v[10:11]
	v_add_f64 v[10:11], v[89:90], v[38:39]
	;; [unrolled: 1-line block ×3, first 2 shown]
	v_add_f64 v[40:41], v[254:255], -v[190:191]
	v_add_f64 v[0:1], v[0:1], v[42:43]
	v_add_f64 v[2:3], v[2:3], v[44:45]
	;; [unrolled: 1-line block ×5, first 2 shown]
	scratch_load_b32 v254, off, off offset:172 ; 4-byte Folded Reload
	v_add_f64 v[14:15], v[228:229], v[14:15]
	v_add_f64 v[24:25], v[218:219], v[24:25]
	;; [unrolled: 1-line block ×14, first 2 shown]
	v_mul_f64 v[46:47], v[40:41], s[16:17]
	v_mul_f64 v[50:51], v[40:41], s[46:47]
	;; [unrolled: 1-line block ×8, first 2 shown]
	v_add_f64 v[42:43], v[42:43], v[220:221]
	v_fma_f64 v[99:100], v[44:45], s[18:19], v[46:47]
	v_fma_f64 v[46:47], v[44:45], s[18:19], -v[46:47]
	v_fma_f64 v[132:133], v[44:45], s[24:25], v[50:51]
	v_fma_f64 v[50:51], v[44:45], s[24:25], -v[50:51]
	;; [unrolled: 2-line block ×8, first 2 shown]
	v_add_f64 v[44:45], v[250:251], v[52:53]
	v_add_f64 v[52:53], v[79:80], v[57:58]
	scratch_load_b64 v[79:80], off, off offset:384 ; 8-byte Folded Reload
	v_add_f64 v[57:58], v[142:143], v[67:68]
	v_add_f64 v[67:68], v[208:209], v[85:86]
	;; [unrolled: 1-line block ×6, first 2 shown]
	scratch_load_b64 v[16:17], off, off offset:240 ; 8-byte Folded Reload
	v_add_f64 v[20:21], v[132:133], v[20:21]
	v_add_f64 v[46:47], v[46:47], v[54:55]
	;; [unrolled: 1-line block ×9, first 2 shown]
	scratch_load_b64 v[75:76], off, off offset:264 ; 8-byte Folded Reload
	v_add_f64 v[188:189], v[89:90], v[8:9]
	scratch_load_b64 v[89:90], off, off offset:280 ; 8-byte Folded Reload
	v_add_f64 v[0:1], v[162:163], v[0:1]
	v_add_f64 v[2:3], v[160:161], v[2:3]
	;; [unrolled: 1-line block ×10, first 2 shown]
	scratch_load_b64 v[85:86], off, off offset:272 ; 8-byte Folded Reload
	v_add_f64 v[24:25], v[172:173], v[24:25]
	v_add_f64 v[8:9], v[99:100], v[105:106]
	;; [unrolled: 1-line block ×12, first 2 shown]
	s_waitcnt vmcnt(5)
	v_add_nc_u32_e32 v83, 0x77, v254
	v_add_nc_u32_e32 v84, 0x66, v254
	;; [unrolled: 1-line block ×5, first 2 shown]
	v_mul_lo_u32 v130, v113, v83
	v_mul_lo_u32 v131, v113, v84
	s_delay_alu instid0(VALU_DEP_2) | instskip(NEXT) | instid1(VALU_DEP_2)
	v_and_b32_e32 v157, 0xff, v130
	v_and_b32_e32 v158, 0xff, v131
	v_lshrrev_b32_e32 v130, 4, v130
	v_lshrrev_b32_e32 v131, 4, v131
	s_delay_alu instid0(VALU_DEP_4) | instskip(NEXT) | instid1(VALU_DEP_4)
	v_lshlrev_b32_e32 v235, 4, v157
	v_lshlrev_b32_e32 v237, 4, v158
	s_delay_alu instid0(VALU_DEP_4) | instskip(NEXT) | instid1(VALU_DEP_4)
	v_and_or_b32 v236, v130, s33, 0x1000
	v_and_or_b32 v238, v131, s33, 0x1000
	s_waitcnt vmcnt(4)
	v_add_f64 v[22:23], v[79:80], v[22:23]
	scratch_load_b64 v[79:80], off, off offset:392 ; 8-byte Folded Reload
	s_waitcnt vmcnt(4)
	v_dual_mov_b32 v161, v17 :: v_dual_mov_b32 v160, v16
	v_mul_lo_u32 v233, v113, v129
	v_add_f64 v[138:139], v[103:104], -v[16:17]
	v_add_f64 v[140:141], v[103:104], v[16:17]
	v_add_f64 v[17:18], v[120:121], v[18:19]
	;; [unrolled: 1-line block ×3, first 2 shown]
	v_mul_lo_u32 v128, v113, v128
	s_delay_alu instid0(VALU_DEP_1) | instskip(SKIP_3) | instid1(VALU_DEP_3)
	v_and_b32_e32 v177, 0xff, v128
	s_waitcnt vmcnt(3)
	v_add_f64 v[22:23], v[75:76], v[22:23]
	v_lshrrev_b32_e32 v234, 4, v128
	v_lshlrev_b32_e32 v242, 4, v177
	s_waitcnt vmcnt(0)
	v_add_f64 v[26:27], v[79:80], v[26:27]
	scratch_load_b64 v[79:80], off, off offset:400 ; 8-byte Folded Reload
	s_waitcnt vmcnt(0)
	v_add_f64 v[34:35], v[79:80], v[34:35]
	scratch_load_b64 v[79:80], off, off offset:408 ; 8-byte Folded Reload
	v_add_f64 v[34:35], v[89:90], v[34:35]
	s_waitcnt vmcnt(0)
	v_add_f64 v[36:37], v[79:80], v[36:37]
	scratch_load_b64 v[79:80], off, off offset:416 ; 8-byte Folded Reload
	s_waitcnt vmcnt(0)
	v_add_f64 v[10:11], v[79:80], v[10:11]
	v_add_f64 v[79:80], v[154:155], v[14:15]
	v_add_nc_u32_e32 v14, 0x99, v254
	v_add_nc_u32_e32 v15, 0x88, v254
	s_delay_alu instid0(VALU_DEP_2) | instskip(NEXT) | instid1(VALU_DEP_2)
	v_mul_lo_u32 v14, v113, v14
	v_mul_lo_u32 v15, v113, v15
	s_delay_alu instid0(VALU_DEP_2) | instskip(SKIP_1) | instid1(VALU_DEP_3)
	v_and_b32_e32 v133, 0xff, v14
	v_lshrrev_b32_e32 v154, 4, v14
	v_and_b32_e32 v155, 0xff, v15
	v_lshrrev_b32_e32 v156, 4, v15
	scratch_load_b64 v[14:15], off, off offset:232 ; 8-byte Folded Reload
	v_mov_b32_e32 v163, v92
	v_add_f64 v[83:84], v[93:94], v[91:92]
	v_add_f64 v[87:88], v[93:94], -v[91:92]
	v_mov_b32_e32 v162, v91
	s_clause 0x1
	scratch_load_b64 v[91:92], off, off offset:224
	scratch_load_b64 v[93:94], off, off offset:208
	v_add_nc_u32_e32 v56, 0xaa, v254
	v_add_f64 v[79:80], v[118:119], v[79:80]
	v_mul_f64 v[184:185], v[83:84], s[24:25]
	v_mul_f64 v[65:66], v[83:84], s[28:29]
	;; [unrolled: 1-line block ×9, first 2 shown]
	s_waitcnt vmcnt(2)
	v_mov_b32_e32 v225, v15
	v_mul_lo_u32 v56, v113, v56
	v_add_f64 v[63:64], v[105:106], v[14:15]
	v_add_f64 v[67:68], v[105:106], -v[14:15]
	s_waitcnt vmcnt(1)
	v_dual_mov_b32 v224, v14 :: v_dual_mov_b32 v221, v92
	s_waitcnt vmcnt(0)
	v_mov_b32_e32 v199, v94
	v_add_f64 v[69:70], v[252:253], v[93:94]
	v_add_f64 v[134:135], v[200:201], -v[91:92]
	v_and_b32_e32 v129, 0xff, v56
	v_lshrrev_b32_e32 v132, 4, v56
	v_add_f64 v[56:57], v[116:117], v[57:58]
	v_add_f64 v[58:59], v[136:137], v[59:60]
	scratch_load_b64 v[14:15], off, off offset:248 ; 8-byte Folded Reload
	v_add_f64 v[136:137], v[200:201], v[91:92]
	v_mov_b32_e32 v220, v91
	v_add_f64 v[142:143], v[252:253], -v[93:94]
	v_mov_b32_e32 v198, v93
	s_clause 0x1
	scratch_load_b64 v[91:92], off, off offset:288
	scratch_load_b64 v[93:94], off, off offset:296
	v_add_f64 v[60:61], v[202:203], v[61:62]
	v_add_nc_u32_e32 v127, 0x44, v254
	v_add_nc_u32_e32 v126, 0x55, v254
	v_lshlrev_b32_e32 v128, 4, v129
	v_add_f64 v[40:41], v[40:41], v[220:221]
	v_add_f64 v[26:27], v[85:86], v[26:27]
	v_mul_f64 v[85:86], v[83:84], s[34:35]
	v_mul_f64 v[148:149], v[63:64], s[20:21]
	;; [unrolled: 1-line block ×19, first 2 shown]
	s_waitcnt vmcnt(2)
	v_add_f64 v[182:183], v[95:96], -v[14:15]
	v_add_f64 v[170:171], v[95:96], v[14:15]
	v_dual_mov_b32 v244, v15 :: v_dual_mov_b32 v243, v14
	v_mul_f64 v[13:14], v[83:84], s[10:11]
	s_waitcnt vmcnt(1)
	v_add_f64 v[36:37], v[91:92], v[36:37]
	s_waitcnt vmcnt(0)
	v_add_f64 v[93:94], v[93:94], v[10:11]
	scratch_load_b64 v[10:11], off, off offset:312 ; 8-byte Folded Reload
	v_mul_f64 v[91:92], v[83:84], s[18:19]
	v_mul_f64 v[95:96], v[87:88], s[54:55]
	v_mul_lo_u32 v126, v113, v126
	v_mul_lo_u32 v127, v113, v127
	v_mul_f64 v[15:16], v[87:88], s[50:51]
	v_mul_f64 v[87:88], v[87:88], s[26:27]
	;; [unrolled: 1-line block ×3, first 2 shown]
	v_and_b32_e32 v159, 0xff, v126
	v_lshrrev_b32_e32 v174, 4, v126
	v_and_b32_e32 v175, 0xff, v127
	v_lshrrev_b32_e32 v176, 4, v127
	s_delay_alu instid0(VALU_DEP_4)
	v_lshlrev_b32_e32 v240, 4, v159
	v_fma_f64 v[101:102], v[182:183], s[46:47], v[184:185]
	v_fma_f64 v[105:106], v[182:183], s[40:41], v[65:66]
	;; [unrolled: 1-line block ×11, first 2 shown]
	v_fma_f64 v[81:82], v[170:171], s[20:21], -v[81:82]
	v_fma_f64 v[89:90], v[170:171], s[34:35], -v[89:90]
	v_fma_f64 v[107:108], v[170:171], s[28:29], v[15:16]
	v_fma_f64 v[85:86], v[182:183], s[42:43], v[85:86]
	v_fma_f64 v[111:112], v[170:171], s[10:11], v[42:43]
	v_fma_f64 v[95:96], v[170:171], s[18:19], -v[95:96]
	v_fma_f64 v[91:92], v[182:183], s[54:55], v[91:92]
	v_fma_f64 v[200:201], v[170:171], s[10:11], -v[42:43]
	v_fma_f64 v[210:211], v[182:183], s[50:51], v[65:66]
	v_fma_f64 v[15:16], v[170:171], s[28:29], -v[15:16]
	v_add_f64 v[21:22], v[101:102], v[22:23]
	v_add_f64 v[26:27], v[105:106], v[26:27]
	v_fma_f64 v[105:106], v[138:139], s[58:59], v[148:149]
	v_add_f64 v[6:7], v[116:117], v[6:7]
	v_add_f64 v[93:94], v[118:119], v[93:94]
	;; [unrolled: 1-line block ×3, first 2 shown]
	v_mul_f64 v[116:117], v[67:68], s[52:53]
	v_mul_f64 v[118:119], v[63:64], s[14:15]
	v_fma_f64 v[120:121], v[182:183], s[52:53], v[13:14]
	v_add_f64 v[0:1], v[103:104], v[0:1]
	v_fma_f64 v[103:104], v[170:171], s[22:23], v[87:88]
	v_add_f64 v[34:35], v[109:110], v[34:35]
	;; [unrolled: 2-line block ×3, first 2 shown]
	v_add_f64 v[2:3], v[107:108], v[2:3]
	v_fma_f64 v[107:108], v[140:141], s[20:21], v[150:151]
	v_add_f64 v[4:5], v[111:112], v[4:5]
	v_fma_f64 v[111:112], v[140:141], s[22:23], v[168:169]
	v_fma_f64 v[101:102], v[182:183], s[56:57], v[83:84]
	;; [unrolled: 1-line block ×3, first 2 shown]
	v_add_f64 v[36:37], v[114:115], v[36:37]
	v_fma_f64 v[87:88], v[170:171], s[22:23], -v[87:88]
	v_mul_f64 v[114:115], v[63:64], s[10:11]
	v_mul_f64 v[126:127], v[67:68], s[16:17]
	v_add_f64 v[30:31], v[95:96], v[30:31]
	v_mul_f64 v[13:14], v[142:143], s[38:39]
	v_add_f64 v[21:22], v[105:106], v[21:22]
	v_fma_f64 v[105:106], v[134:135], s[60:61], v[144:145]
	v_fma_f64 v[144:145], v[134:135], s[30:31], v[144:145]
	v_add_f64 v[23:24], v[103:104], v[24:25]
	v_fma_f64 v[103:104], v[140:141], s[34:35], v[194:195]
	v_add_f64 v[25:26], v[109:110], v[26:27]
	v_add_f64 v[27:28], v[89:90], v[28:29]
	v_fma_f64 v[109:110], v[134:135], s[52:53], v[152:153]
	v_add_f64 v[0:1], v[107:108], v[0:1]
	v_fma_f64 v[107:108], v[136:137], s[14:15], v[146:147]
	;; [unrolled: 2-line block ×3, first 2 shown]
	v_lshlrev_b32_e32 v29, 4, v133
	v_fma_f64 v[152:153], v[134:135], s[12:13], v[152:153]
	v_add_f64 v[46:47], v[87:88], v[46:47]
	v_fma_f64 v[180:181], v[136:137], s[10:11], -v[180:181]
	v_fma_f64 v[146:147], v[136:137], s[14:15], -v[146:147]
	v_add_f64 v[89:90], v[105:106], v[21:22]
	v_fma_f64 v[21:22], v[140:141], s[18:19], v[126:127]
	v_add_f64 v[4:5], v[103:104], v[4:5]
	v_fma_f64 v[103:104], v[140:141], s[10:11], -v[116:117]
	v_add_f64 v[0:1], v[107:108], v[0:1]
	v_fma_f64 v[107:108], v[134:135], s[54:55], v[204:205]
	v_add_f64 v[95:96], v[111:112], v[2:3]
	v_fma_f64 v[111:112], v[134:135], s[46:47], v[208:209]
	v_fma_f64 v[204:205], v[134:135], s[16:17], v[204:205]
	v_add_f64 v[172:173], v[103:104], v[27:28]
	s_waitcnt vmcnt(0)
	v_add_f64 v[38:39], v[10:11], v[38:39]
	scratch_load_b64 v[10:11], off, off offset:304 ; 8-byte Folded Reload
	v_add_f64 v[38:39], v[124:125], v[38:39]
	v_add_f64 v[124:125], v[8:9], v[198:199]
	v_and_or_b32 v8, v132, s33, 0x1000
	v_mul_f64 v[198:199], v[69:70], s[20:21]
	s_waitcnt vmcnt(0)
	v_add_f64 v[44:45], v[10:11], v[44:45]
	scratch_load_b64 v[10:11], off, off offset:376 ; 8-byte Folded Reload
	s_waitcnt vmcnt(0)
	v_add_f64 v[52:53], v[10:11], v[52:53]
	scratch_load_b64 v[10:11], off, off offset:368 ; 8-byte Folded Reload
	v_add_f64 v[52:53], v[101:102], v[52:53]
	s_waitcnt vmcnt(0)
	v_add_f64 v[56:57], v[10:11], v[56:57]
	scratch_load_b64 v[10:11], off, off offset:360 ; 8-byte Folded Reload
	v_add_f64 v[56:57], v[83:84], v[56:57]
	v_fma_f64 v[83:84], v[138:139], s[38:39], v[196:197]
	s_delay_alu instid0(VALU_DEP_1)
	v_add_f64 v[36:37], v[83:84], v[36:37]
	v_add_f64 v[83:84], v[124:125], v[224:225]
	v_and_or_b32 v125, v156, s33, 0x1000
	v_lshlrev_b32_e32 v124, 4, v155
	v_mul_f64 v[224:225], v[142:143], s[40:41]
	v_add_f64 v[130:131], v[107:108], v[36:37]
	v_fma_f64 v[107:108], v[138:139], s[46:47], v[196:197]
	s_waitcnt vmcnt(0)
	v_add_f64 v[54:55], v[10:11], v[54:55]
	scratch_load_b64 v[10:11], off, off offset:352 ; 8-byte Folded Reload
	s_waitcnt vmcnt(0)
	v_add_f64 v[58:59], v[10:11], v[58:59]
	scratch_load_b64 v[10:11], off, off offset:344 ; 8-byte Folded Reload
	v_add_f64 v[58:59], v[91:92], v[58:59]
	v_add_f64 v[91:92], v[109:110], v[25:26]
	v_fma_f64 v[109:110], v[136:137], s[18:19], v[206:207]
	v_fma_f64 v[206:207], v[136:137], s[18:19], -v[206:207]
	s_waitcnt vmcnt(0)
	v_add_f64 v[77:78], v[10:11], v[77:78]
	scratch_load_b64 v[10:11], off, off offset:336 ; 8-byte Folded Reload
	v_add_f64 v[77:78], v[85:86], v[77:78]
	s_waitcnt vmcnt(0)
	v_add_f64 v[71:72], v[10:11], v[71:72]
	scratch_load_b64 v[10:11], off, off offset:432 ; 8-byte Folded Reload
	v_add_f64 v[222:223], v[75:76], v[71:72]
	v_fma_f64 v[71:72], v[140:141], s[24:25], v[202:203]
	v_fma_f64 v[75:76], v[138:139], s[60:61], v[118:119]
	s_delay_alu instid0(VALU_DEP_2) | instskip(NEXT) | instid1(VALU_DEP_2)
	v_add_f64 v[6:7], v[71:72], v[6:7]
	v_add_f64 v[38:39], v[75:76], v[38:39]
	s_delay_alu instid0(VALU_DEP_2)
	v_add_f64 v[132:133], v[109:110], v[6:7]
	v_fma_f64 v[109:110], v[140:141], s[24:25], -v[202:203]
	s_waitcnt vmcnt(0)
	v_add_f64 v[32:33], v[10:11], v[32:33]
	scratch_load_b64 v[10:11], off, off offset:328 ; 8-byte Folded Reload
	v_add_f64 v[218:219], v[81:82], v[32:33]
	v_fma_f64 v[32:33], v[138:139], s[12:13], v[114:115]
	s_delay_alu instid0(VALU_DEP_1)
	v_add_f64 v[32:33], v[32:33], v[93:94]
	s_waitcnt vmcnt(0)
	v_add_f64 v[73:74], v[10:11], v[73:74]
	scratch_load_b64 v[10:11], off, off offset:424 ; 8-byte Folded Reload
	v_add_f64 v[214:215], v[120:121], v[73:74]
	v_fma_f64 v[73:74], v[140:141], s[10:11], v[116:117]
	v_fma_f64 v[116:117], v[134:135], s[56:57], v[212:213]
	;; [unrolled: 1-line block ×3, first 2 shown]
	s_delay_alu instid0(VALU_DEP_3)
	v_add_f64 v[105:106], v[73:74], v[79:80]
	s_waitcnt vmcnt(0)
	v_add_f64 v[190:191], v[10:11], v[48:49]
	scratch_load_b64 v[48:49], off, off offset:320 ; 8-byte Folded Reload
	s_clause 0x1
	global_load_b128 v[69:72], v128, s[8:9]
	global_load_b128 v[73:76], v8, s[8:9]
	v_mul_f64 v[11:12], v[63:64], s[34:35]
	v_and_or_b32 v8, v174, s33, 0x1000
	v_mul_f64 v[9:10], v[142:143], s[36:37]
	s_delay_alu instid0(VALU_DEP_3) | instskip(NEXT) | instid1(VALU_DEP_2)
	v_fma_f64 v[101:102], v[138:139], s[42:43], v[11:12]
	v_fma_f64 v[93:94], v[136:137], s[20:21], v[9:10]
	v_fma_f64 v[9:10], v[136:137], s[20:21], -v[9:10]
	s_delay_alu instid0(VALU_DEP_3) | instskip(SKIP_1) | instid1(VALU_DEP_4)
	v_add_f64 v[34:35], v[101:102], v[34:35]
	v_fma_f64 v[101:102], v[138:139], s[52:53], v[114:115]
	v_add_f64 v[128:129], v[93:94], v[4:5]
	s_waitcnt vmcnt(2)
	v_add_f64 v[192:193], v[48:49], v[60:61]
	v_fma_f64 v[48:49], v[182:183], s[60:61], v[97:98]
	v_fma_f64 v[60:61], v[170:171], s[14:15], v[99:100]
	;; [unrolled: 1-line block ×3, first 2 shown]
	v_fma_f64 v[99:100], v[170:171], s[14:15], -v[99:100]
	s_delay_alu instid0(VALU_DEP_4)
	v_add_f64 v[44:45], v[48:49], v[44:45]
	v_mul_f64 v[48:49], v[67:68], s[30:31]
	v_add_f64 v[19:20], v[60:61], v[19:20]
	v_mul_f64 v[60:61], v[63:64], s[18:19]
	v_add_f64 v[54:55], v[97:98], v[54:55]
	v_mul_f64 v[67:68], v[67:68], s[40:41]
	v_add_f64 v[50:51], v[99:100], v[50:51]
	v_fma_f64 v[97:98], v[138:139], s[30:31], v[118:119]
	v_fma_f64 v[99:100], v[134:135], s[58:59], v[198:199]
	v_mul_f64 v[62:63], v[63:64], s[28:29]
	v_and_or_b32 v64, v154, s33, 0x1000
	v_fma_f64 v[198:199], v[134:135], s[36:37], v[198:199]
	v_fma_f64 v[81:82], v[140:141], s[14:15], v[48:49]
	v_fma_f64 v[48:49], v[140:141], s[14:15], -v[48:49]
	v_fma_f64 v[85:86], v[138:139], s[54:55], v[60:61]
	v_fma_f64 v[60:61], v[138:139], s[16:17], v[60:61]
	v_fma_f64 v[2:3], v[140:141], s[28:29], -v[67:68]
	v_fma_f64 v[25:26], v[140:141], s[28:29], v[67:68]
	v_fma_f64 v[67:68], v[140:141], s[18:19], -v[126:127]
	v_add_f64 v[114:115], v[21:22], v[19:20]
	v_add_f64 v[230:231], v[99:100], v[34:35]
	v_fma_f64 v[87:88], v[138:139], s[50:51], v[62:63]
	v_fma_f64 v[62:63], v[138:139], s[40:41], v[62:63]
	v_add_f64 v[81:82], v[81:82], v[17:18]
	scratch_load_b64 v[17:18], off, off offset:200 ; 8-byte Folded Reload
	v_add_f64 v[44:45], v[85:86], v[44:45]
	v_add_f64 v[158:159], v[60:61], v[54:55]
	v_fma_f64 v[85:86], v[136:137], s[24:25], v[13:14]
	v_add_f64 v[156:157], v[2:3], v[46:47]
	v_add_f64 v[2:3], v[40:41], v[160:161]
	;; [unrolled: 1-line block ×6, first 2 shown]
	v_lshlrev_b32_e32 v58, 4, v175
	v_and_or_b32 v59, v176, s33, 0x1000
	v_add_f64 v[176:177], v[48:49], v[30:31]
	v_add_f64 v[174:175], v[101:102], v[77:78]
	;; [unrolled: 1-line block ×3, first 2 shown]
	v_fma_f64 v[52:53], v[136:137], s[22:23], v[216:217]
	v_add_f64 v[154:155], v[62:63], v[56:57]
	v_fma_f64 v[56:57], v[136:137], s[28:29], v[224:225]
	v_fma_f64 v[62:63], v[134:135], s[44:45], v[228:229]
	v_fma_f64 v[13:14], v[136:137], s[24:25], -v[13:14]
	v_add_f64 v[83:84], v[120:121], v[44:45]
	v_add_f64 v[126:127], v[85:86], v[105:106]
	;; [unrolled: 1-line block ×3, first 2 shown]
	v_mul_f64 v[105:106], v[142:143], s[42:43]
	v_add_f64 v[87:88], v[52:53], v[81:82]
	v_add_f64 v[81:82], v[56:57], v[114:115]
	v_fma_f64 v[115:116], v[138:139], s[26:27], v[166:167]
	s_waitcnt vmcnt(0)
	v_mul_f64 v[54:55], v[0:1], v[17:18]
	v_mul_f64 v[60:61], v[89:90], v[17:18]
	scratch_load_b64 v[17:18], off, off offset:192 ; 8-byte Folded Reload
	s_waitcnt vmcnt(0)
	v_mul_f64 v[67:68], v[95:96], v[17:18]
	v_mul_f64 v[97:98], v[91:92], v[17:18]
	s_clause 0x3
	global_load_b128 v[77:80], v29, s[8:9]
	global_load_b128 v[17:20], v64, s[8:9]
	;; [unrolled: 1-line block ×4, first 2 shown]
	v_add_f64 v[124:125], v[111:112], v[32:33]
	s_clause 0x3
	global_load_b128 v[29:32], v235, s[8:9]
	global_load_b128 v[33:36], v236, s[8:9]
	;; [unrolled: 1-line block ×4, first 2 shown]
	v_add_f64 v[236:237], v[2:3], v[243:244]
	scratch_load_b64 v[2:3], off, off offset:216 ; 8-byte Folded Reload
	v_fma_f64 v[111:112], v[138:139], s[44:45], v[11:12]
	s_delay_alu instid0(VALU_DEP_1)
	v_add_f64 v[111:112], v[111:112], v[214:215]
	s_waitcnt vmcnt(1)
	v_mul_f64 v[196:197], v[37:38], v[43:44]
	v_mul_f64 v[43:44], v[39:40], v[43:44]
	s_waitcnt vmcnt(0)
	v_add_f64 v[238:239], v[46:47], v[2:3]
	s_clause 0x1
	global_load_b128 v[45:48], v240, s[8:9]
	global_load_b128 v[49:52], v8, s[8:9]
	scratch_load_b64 v[4:5], off, off offset:28 ; 8-byte Folded Reload
	v_add_f64 v[240:241], v[62:63], v[118:119]
	v_fma_f64 v[117:118], v[138:139], s[36:37], v[148:149]
	v_fma_f64 v[119:120], v[140:141], s[20:21], -v[150:151]
	v_mul_f64 v[138:139], v[71:72], v[75:76]
	v_fma_f64 v[150:151], v[136:137], s[28:29], -v[224:225]
	s_waitcnt vmcnt(1)
	v_mul_f64 v[202:203], v[45:46], v[51:52]
	s_waitcnt vmcnt(0)
	v_fma_f64 v[2:3], v[89:90], v[4:5], v[54:55]
	v_fma_f64 v[0:1], v[0:1], v[4:5], -v[60:61]
	v_and_b32_e32 v89, 0xff, v233
	v_mul_lo_u32 v90, v113, v232
	s_delay_alu instid0(VALU_DEP_2) | instskip(NEXT) | instid1(VALU_DEP_2)
	v_lshlrev_b32_e32 v244, 4, v89
	v_lshrrev_b32_e32 v243, 4, v90
	scratch_store_b128 off, v[0:3], off offset:28 ; 16-byte Folded Spill
	s_clause 0x1
	global_load_b128 v[53:56], v58, s[8:9]
	global_load_b128 v[57:60], v59, s[8:9]
	scratch_load_b64 v[0:1], off, off offset:184 ; 8-byte Folded Reload
	s_waitcnt vmcnt(0)
	v_fma_f64 v[7:8], v[91:92], v[0:1], v[67:68]
	v_lshrrev_b32_e32 v91, 4, v233
	v_fma_f64 v[5:6], v[95:96], v[0:1], -v[97:98]
	v_and_or_b32 v0, v234, s33, 0x1000
	s_clause 0x1
	global_load_b128 v[61:64], v242, s[8:9]
	global_load_b128 v[65:68], v0, s[8:9]
	v_and_or_b32 v245, v91, s33, 0x1000
	s_clause 0x1
	global_load_b128 v[246:249], v244, s[8:9]
	global_load_b128 v[250:253], v245, s[8:9]
	scratch_load_b64 v[1:2], off, off offset:156 ; 8-byte Folded Reload
	v_and_b32_e32 v242, 0xff, v90
	v_and_or_b32 v98, v243, s33, 0x1000
	v_fma_f64 v[91:92], v[182:183], s[38:39], v[184:185]
	v_mul_lo_u32 v0, v113, v254
	v_fma_f64 v[95:96], v[170:171], s[24:25], -v[178:179]
	v_lshlrev_b32_e32 v97, 4, v242
	v_add_f64 v[234:235], v[200:201], v[190:191]
	v_fma_f64 v[113:114], v[140:141], s[34:35], -v[194:195]
	v_add_f64 v[232:233], v[210:211], v[192:193]
	v_fma_f64 v[192:193], v[134:135], s[26:27], v[212:213]
	v_fma_f64 v[200:201], v[134:135], s[38:39], v[208:209]
	v_and_b32_e32 v99, 0xff, v0
	v_lshrrev_b32_e32 v0, 4, v0
	v_fma_f64 v[194:195], v[136:137], s[22:23], -v[216:217]
	v_mul_f64 v[210:211], v[53:54], v[59:60]
	s_delay_alu instid0(VALU_DEP_4) | instskip(NEXT) | instid1(VALU_DEP_4)
	v_lshlrev_b32_e32 v103, 4, v99
	v_and_or_b32 v0, v0, s33, 0x1000
	v_add_f64 v[99:100], v[238:239], v[122:123]
	v_add_f64 v[113:114], v[113:114], v[234:235]
	;; [unrolled: 1-line block ×4, first 2 shown]
	v_fma_f64 v[176:177], v[39:40], v[41:42], v[196:197]
	v_fma_f64 v[41:42], v[37:38], v[41:42], -v[43:44]
	s_delay_alu instid0(VALU_DEP_2)
	v_mul_f64 v[43:44], v[115:116], v[176:177]
	s_waitcnt vmcnt(3)
	v_mul_f64 v[212:213], v[61:62], v[67:68]
	s_waitcnt vmcnt(1)
	;; [unrolled: 2-line block ×3, first 2 shown]
	v_add_f64 v[89:90], v[1:2], v[188:189]
	scratch_load_b64 v[1:2], off, off offset:116 ; 8-byte Folded Reload
	v_mul_f64 v[196:197], v[248:249], v[252:253]
	v_fma_f64 v[194:195], v[63:64], v[65:66], v[212:213]
	v_add_f64 v[15:16], v[15:16], v[89:90]
	v_mul_f64 v[89:90], v[69:70], v[75:76]
	v_fma_f64 v[75:76], v[134:135], s[42:43], v[228:229]
	s_delay_alu instid0(VALU_DEP_2) | instskip(SKIP_1) | instid1(VALU_DEP_3)
	v_fma_f64 v[89:90], v[71:72], v[73:74], v[89:90]
	v_fma_f64 v[71:72], v[134:135], s[40:41], v[220:221]
	v_add_f64 v[142:143], v[75:76], v[154:155]
	v_add_f64 v[134:135], v[150:151], v[160:161]
	v_mul_f64 v[220:221], v[31:32], v[35:36]
	v_add_f64 v[75:76], v[152:153], v[208:209]
	v_mul_f64 v[160:161], v[83:84], v[89:90]
	s_waitcnt vmcnt(0)
	v_add_f64 v[93:94], v[1:2], v[186:187]
	s_clause 0x1
	global_load_b128 v[182:185], v97, s[8:9]
	global_load_b128 v[186:189], v98, s[8:9]
	scratch_load_b64 v[1:2], off, off offset:132 ; 8-byte Folded Reload
	v_add_f64 v[91:92], v[91:92], v[93:94]
	v_fma_f64 v[93:94], v[136:137], s[34:35], v[105:106]
	v_fma_f64 v[105:106], v[136:137], s[34:35], -v[105:106]
	s_delay_alu instid0(VALU_DEP_3) | instskip(NEXT) | instid1(VALU_DEP_3)
	v_add_f64 v[91:92], v[117:118], v[91:92]
	v_add_f64 v[136:137], v[93:94], v[226:227]
	;; [unrolled: 1-line block ×3, first 2 shown]
	v_fma_f64 v[192:193], v[55:56], v[57:58], v[210:211]
	s_delay_alu instid0(VALU_DEP_2)
	v_fma_f64 v[43:44], v[117:118], v[41:42], v[43:44]
	s_waitcnt vmcnt(1)
	v_mul_f64 v[216:217], v[182:183], v[188:189]
	s_waitcnt vmcnt(0)
	v_add_f64 v[97:98], v[1:2], v[164:165]
	scratch_load_b64 v[1:2], off, off offset:124 ; 8-byte Folded Reload
	v_add_f64 v[164:165], v[109:110], v[218:219]
	v_mul_f64 v[218:219], v[23:24], v[27:28]
	v_mul_f64 v[109:110], v[29:30], v[35:36]
	;; [unrolled: 1-line block ×3, first 2 shown]
	v_fma_f64 v[184:185], v[184:185], v[186:187], v[216:217]
	v_add_f64 v[95:96], v[95:96], v[97:98]
	v_add_f64 v[97:98], v[107:108], v[222:223]
	v_mul_f64 v[107:108], v[77:78], v[19:20]
	v_mul_f64 v[19:20], v[79:80], v[19:20]
	v_fma_f64 v[150:151], v[21:22], v[25:26], -v[218:219]
	v_fma_f64 v[222:223], v[31:32], v[33:34], v[109:110]
	v_add_f64 v[109:110], v[13:14], v[172:173]
	v_fma_f64 v[13:14], v[47:48], v[49:50], v[202:203]
	v_mul_f64 v[172:173], v[55:56], v[59:60]
	v_add_f64 v[55:56], v[198:199], v[111:112]
	v_add_f64 v[119:120], v[119:120], v[95:96]
	v_fma_f64 v[79:80], v[79:80], v[17:18], v[107:108]
	v_fma_f64 v[154:155], v[77:78], v[17:18], -v[19:20]
	v_add_f64 v[107:108], v[200:201], v[174:175]
	v_mul_f64 v[174:175], v[47:48], v[51:52]
	v_add_f64 v[51:52], v[204:205], v[97:98]
	v_mul_f64 v[97:98], v[63:64], v[67:68]
	v_mul_f64 v[47:48], v[109:110], v[13:14]
	;; [unrolled: 1-line block ×3, first 2 shown]
	v_add_f64 v[67:68], v[146:147], v[119:120]
	v_mul_f64 v[31:32], v[136:137], v[79:80]
	v_mul_f64 v[119:120], v[107:108], v[13:14]
	v_fma_f64 v[45:46], v[45:46], v[49:50], -v[174:175]
	v_fma_f64 v[49:50], v[53:54], v[57:58], -v[172:173]
	;; [unrolled: 1-line block ×4, first 2 shown]
	v_mul_f64 v[111:112], v[51:52], v[192:193]
	v_fma_f64 v[31:32], v[240:241], v[154:155], v[31:32]
	v_fma_f64 v[47:48], v[107:108], v[45:46], v[47:48]
	v_fma_f64 v[45:46], v[109:110], v[45:46], -v[119:120]
	s_waitcnt vmcnt(0)
	v_add_f64 v[101:102], v[236:237], v[1:2]
	s_clause 0x1
	global_load_b128 v[236:239], v103, s[8:9]
	global_load_b128 v[242:245], v0, s[8:9]
	s_clause 0x3
	scratch_load_b64 v[0:1], off, off offset:164
	scratch_load_b64 v[93:94], off, off offset:108
	;; [unrolled: 1-line block ×4, first 2 shown]
	s_waitcnt vmcnt(4)
	v_mul_f64 v[198:199], v[238:239], v[244:245]
	s_waitcnt vmcnt(3)
	v_add_f64 v[101:102], v[101:102], v[0:1]
	scratch_load_b64 v[0:1], off, off offset:92 ; 8-byte Folded Reload
	s_waitcnt vmcnt(2)
	v_mul_f64 v[170:171], v[130:131], v[2:3]
	v_fma_f64 v[57:58], v[236:237], v[242:243], -v[198:199]
	s_waitcnt vmcnt(1)
	v_add_f64 v[101:102], v[101:102], v[121:122]
	s_clause 0x1
	scratch_load_b64 v[121:122], off, off offset:140
	scratch_load_b64 v[17:18], off, off offset:20
	s_waitcnt vmcnt(2)
	v_mul_f64 v[103:104], v[128:129], v[0:1]
	v_mul_f64 v[166:167], v[230:231], v[0:1]
	scratch_load_b64 v[0:1], off, off offset:76 ; 8-byte Folded Reload
	s_waitcnt vmcnt(2)
	v_add_f64 v[99:100], v[99:100], v[121:122]
	v_mul_f64 v[121:122], v[21:22], v[27:28]
	s_clause 0x1
	scratch_load_b64 v[27:28], off, off offset:100
	scratch_load_b64 v[21:22], off, off offset:4
	v_fma_f64 v[23:24], v[23:24], v[25:26], v[121:122]
	v_add_f64 v[121:122], v[71:72], v[158:159]
	v_add_f64 v[71:72], v[144:145], v[91:92]
	v_fma_f64 v[158:159], v[69:70], v[73:74], -v[138:139]
	v_mul_f64 v[69:70], v[184:185], v[67:68]
	v_mul_f64 v[138:139], v[117:118], v[176:177]
	v_fma_f64 v[144:145], v[29:30], v[33:34], -v[220:221]
	v_mul_f64 v[152:153], v[142:143], v[23:24]
	v_mul_f64 v[146:147], v[121:122], v[222:223]
	;; [unrolled: 1-line block ×3, first 2 shown]
	v_fma_f64 v[69:70], v[65:66], v[71:72], v[69:70]
	v_fma_f64 v[41:42], v[115:116], v[41:42], -v[138:139]
	v_fma_f64 v[39:40], v[121:122], v[144:145], v[39:40]
	v_fma_f64 v[37:38], v[134:135], v[144:145], -v[146:147]
	v_fma_f64 v[67:68], v[65:66], v[67:68], -v[73:74]
	s_waitcnt vmcnt(2)
	v_fma_f64 v[11:12], v[230:231], v[0:1], v[103:104]
	v_fma_f64 v[103:104], v[140:141], s[22:23], -v[168:169]
	v_mul_f64 v[168:169], v[132:133], v[2:3]
	scratch_load_b64 v[2:3], off, off offset:68 ; 8-byte Folded Reload
	v_add_f64 v[140:141], v[105:106], v[156:157]
	v_mul_f64 v[156:157], v[240:241], v[79:80]
	v_add_f64 v[15:16], v[103:104], v[15:16]
	v_add_f64 v[103:104], v[206:207], v[164:165]
	s_delay_alu instid0(VALU_DEP_4)
	v_mul_f64 v[35:36], v[140:141], v[23:24]
	v_fma_f64 v[33:34], v[140:141], v[150:151], -v[152:153]
	v_fma_f64 v[29:30], v[136:137], v[154:155], -v[156:157]
	v_add_f64 v[95:96], v[180:181], v[15:16]
	v_fma_f64 v[180:181], v[248:249], v[250:251], v[214:215]
	v_fma_f64 v[35:36], v[142:143], v[150:151], v[35:36]
	s_delay_alu instid0(VALU_DEP_2)
	v_mul_f64 v[91:92], v[95:96], v[180:181]
	v_mul_f64 v[97:98], v[75:76], v[180:181]
	s_waitcnt vmcnt(0)
	v_mul_f64 v[178:179], v[126:127], v[2:3]
	v_mul_f64 v[190:191], v[124:125], v[2:3]
	scratch_load_b64 v[2:3], off, off offset:60 ; 8-byte Folded Reload
	v_fma_f64 v[19:20], v[124:125], v[17:18], v[178:179]
	v_fma_f64 v[17:18], v[126:127], v[17:18], -v[190:191]
	s_waitcnt vmcnt(0)
	v_mul_f64 v[148:149], v[87:88], v[2:3]
	v_mul_f64 v[164:165], v[85:86], v[2:3]
	scratch_load_b64 v[2:3], off, off offset:52 ; 8-byte Folded Reload
	v_add_f64 v[105:106], v[99:100], v[27:28]
	v_add_f64 v[99:100], v[9:10], v[113:114]
	scratch_load_b64 v[9:10], off, off offset:12 ; 8-byte Folded Reload
	v_mul_f64 v[27:28], v[81:82], v[89:90]
	v_fma_f64 v[89:90], v[246:247], v[250:251], -v[196:197]
	v_mul_f64 v[113:114], v[103:104], v[192:193]
	v_fma_f64 v[23:24], v[85:86], v[21:22], v[148:149]
	v_fma_f64 v[21:22], v[87:88], v[21:22], -v[164:165]
	scratch_load_b32 v87, off, off          ; 4-byte Folded Reload
	v_fma_f64 v[27:28], v[83:84], v[158:159], v[27:28]
	v_fma_f64 v[79:80], v[95:96], v[89:90], -v[97:98]
	v_fma_f64 v[51:52], v[51:52], v[49:50], v[113:114]
	v_fma_f64 v[49:50], v[103:104], v[49:50], -v[111:112]
	s_waitcnt vmcnt(1)
	v_add_f64 v[63:64], v[105:106], v[9:10]
	v_fma_f64 v[9:10], v[128:129], v[0:1], -v[166:167]
	scratch_load_b64 v[0:1], off, off offset:44 ; 8-byte Folded Reload
	v_add_f64 v[93:94], v[101:102], v[93:94]
	v_mul_f64 v[101:102], v[236:237], v[244:245]
	v_mul_f64 v[105:106], v[55:56], v[194:195]
	s_waitcnt vmcnt(1)
	v_mad_u64_u32 v[83:84], null, s6, v87, 0
	s_delay_alu instid0(VALU_DEP_4) | instskip(NEXT) | instid1(VALU_DEP_4)
	v_add_f64 v[59:60], v[93:94], v[2:3]
	v_fma_f64 v[162:163], v[238:239], v[242:243], v[101:102]
	v_mul_f64 v[101:102], v[99:100], v[194:195]
	s_delay_alu instid0(VALU_DEP_2) | instskip(SKIP_1) | instid1(VALU_DEP_3)
	v_mul_f64 v[61:62], v[59:60], v[162:163]
	v_mul_f64 v[77:78], v[63:64], v[162:163]
	v_fma_f64 v[55:56], v[55:56], v[53:54], v[101:102]
	v_fma_f64 v[53:54], v[99:100], v[53:54], -v[105:106]
	s_delay_alu instid0(VALU_DEP_4) | instskip(NEXT) | instid1(VALU_DEP_4)
	v_fma_f64 v[61:62], v[63:64], v[57:58], v[61:62]
	v_fma_f64 v[59:60], v[59:60], v[57:58], -v[77:78]
	s_waitcnt vmcnt(0)
	v_fma_f64 v[15:16], v[130:131], v[0:1], v[168:169]
	v_fma_f64 v[13:14], v[132:133], v[0:1], -v[170:171]
	scratch_load_b32 v0, off, off offset:180 ; 4-byte Folded Reload
	s_waitcnt vmcnt(0)
	v_and_b32_e32 v0, 0xffff, v0
	s_delay_alu instid0(VALU_DEP_1) | instskip(NEXT) | instid1(VALU_DEP_1)
	v_mul_u32_u24_e32 v25, 0x227, v0
	v_lshrrev_b32_e32 v0, 16, v25
	v_fma_f64 v[25:26], v[81:82], v[158:159], -v[160:161]
	v_fma_f64 v[81:82], v[75:76], v[89:90], v[91:92]
	v_mov_b32_e32 v75, v84
	s_delay_alu instid0(VALU_DEP_4) | instskip(NEXT) | instid1(VALU_DEP_2)
	v_mul_lo_u16 v0, 0x121, v0
	v_mad_u64_u32 v[71:72], null, s7, v87, v[75:76]
	s_delay_alu instid0(VALU_DEP_2) | instskip(NEXT) | instid1(VALU_DEP_1)
	v_and_b32_e32 v0, 0xffff, v0
	v_add_nc_u32_e32 v0, v254, v0
	s_delay_alu instid0(VALU_DEP_3) | instskip(NEXT) | instid1(VALU_DEP_2)
	v_mov_b32_e32 v84, v71
	v_mad_u64_u32 v[85:86], null, s4, v0, 0
	v_add_nc_u32_e32 v73, 17, v0
	s_delay_alu instid0(VALU_DEP_2) | instskip(NEXT) | instid1(VALU_DEP_1)
	v_dual_mov_b32 v65, v86 :: v_dual_add_nc_u32 v78, 34, v0
	v_mad_u64_u32 v[63:64], null, s5, v0, v[65:66]
	s_delay_alu instid0(VALU_DEP_3) | instskip(NEXT) | instid1(VALU_DEP_1)
	v_mad_u64_u32 v[64:65], null, s4, v73, 0
	v_dual_mov_b32 v86, v63 :: v_dual_mov_b32 v57, v65
	v_lshlrev_b64 v[65:66], 4, v[83:84]
	s_delay_alu instid0(VALU_DEP_2) | instskip(NEXT) | instid1(VALU_DEP_3)
	v_lshlrev_b64 v[74:75], 4, v[85:86]
	v_mad_u64_u32 v[71:72], null, s5, v73, v[57:58]
	v_mad_u64_u32 v[72:73], null, s4, v78, 0
	s_delay_alu instid0(VALU_DEP_4) | instskip(SKIP_1) | instid1(VALU_DEP_4)
	v_add_co_u32 v57, vcc_lo, s0, v65
	v_add_co_ci_u32_e32 v58, vcc_lo, s1, v66, vcc_lo
	v_dual_mov_b32 v65, v71 :: v_dual_add_nc_u32 v66, 51, v0
	v_add_nc_u32_e32 v71, 0x44, v0
	v_mov_b32_e32 v63, v73
	v_add_co_u32 v73, vcc_lo, v57, v74
	s_delay_alu instid0(VALU_DEP_4)
	v_mad_u64_u32 v[76:77], null, s4, v66, 0
	v_add_co_ci_u32_e32 v74, vcc_lo, v58, v75, vcc_lo
	v_lshlrev_b64 v[64:65], 4, v[64:65]
	global_store_b128 v[73:74], v[59:62], off
	v_mad_u64_u32 v[83:84], null, s5, v78, v[63:64]
	v_add_co_u32 v64, vcc_lo, v57, v64
	v_mov_b32_e32 v63, v77
	v_mad_u64_u32 v[84:85], null, s4, v71, 0
	v_add_co_ci_u32_e32 v65, vcc_lo, v58, v65, vcc_lo
	s_delay_alu instid0(VALU_DEP_3)
	v_mad_u64_u32 v[77:78], null, s5, v66, v[63:64]
	v_mov_b32_e32 v73, v83
	global_store_b128 v[64:65], v[67:70], off
	v_add_nc_u32_e32 v68, 0x55, v0
	v_add_nc_u32_e32 v69, 0x66, v0
	v_mov_b32_e32 v61, v85
	v_lshlrev_b64 v[59:60], 4, v[72:73]
	v_lshlrev_b64 v[64:65], 4, v[76:77]
	v_mad_u64_u32 v[62:63], null, s4, v68, 0
	s_delay_alu instid0(VALU_DEP_3) | instskip(NEXT) | instid1(VALU_DEP_4)
	v_add_co_u32 v59, vcc_lo, v57, v59
	v_add_co_ci_u32_e32 v60, vcc_lo, v58, v60, vcc_lo
	s_delay_alu instid0(VALU_DEP_3) | instskip(NEXT) | instid1(VALU_DEP_4)
	v_mad_u64_u32 v[66:67], null, s5, v71, v[61:62]
	v_mov_b32_e32 v61, v63
	v_add_co_u32 v63, vcc_lo, v57, v64
	v_add_co_ci_u32_e32 v64, vcc_lo, v58, v65, vcc_lo
	global_store_b128 v[59:60], v[79:82], off
	v_mov_b32_e32 v85, v66
	v_mad_u64_u32 v[65:66], null, s5, v68, v[61:62]
	v_mad_u64_u32 v[66:67], null, s4, v69, 0
	global_store_b128 v[63:64], v[53:56], off
	v_lshlrev_b64 v[59:60], 4, v[84:85]
	v_mov_b32_e32 v63, v65
	v_dual_mov_b32 v53, v67 :: v_dual_add_nc_u32 v56, 0x77, v0
	s_delay_alu instid0(VALU_DEP_3) | instskip(NEXT) | instid1(VALU_DEP_4)
	v_add_co_u32 v54, vcc_lo, v57, v59
	v_add_co_ci_u32_e32 v55, vcc_lo, v58, v60, vcc_lo
	s_delay_alu instid0(VALU_DEP_4) | instskip(NEXT) | instid1(VALU_DEP_3)
	v_lshlrev_b64 v[59:60], 4, v[62:63]
	v_mad_u64_u32 v[61:62], null, s5, v69, v[53:54]
	v_add_nc_u32_e32 v53, 0x99, v0
	v_mad_u64_u32 v[62:63], null, s4, v56, 0
	global_store_b128 v[54:55], v[49:52], off
	v_add_nc_u32_e32 v52, 0x88, v0
	v_add_nc_u32_e32 v54, 0xaa, v0
	v_add_co_u32 v59, vcc_lo, v57, v59
	v_add_co_ci_u32_e32 v60, vcc_lo, v58, v60, vcc_lo
	v_mov_b32_e32 v67, v61
	v_mov_b32_e32 v49, v63
	global_store_b128 v[59:60], v[45:48], off
	v_lshlrev_b64 v[45:46], 4, v[66:67]
	v_mad_u64_u32 v[47:48], null, s5, v56, v[49:50]
	v_mad_u64_u32 v[50:51], null, s4, v53, 0
	;; [unrolled: 1-line block ×3, first 2 shown]
	s_delay_alu instid0(VALU_DEP_4) | instskip(SKIP_2) | instid1(VALU_DEP_4)
	v_add_co_u32 v45, vcc_lo, v57, v45
	v_add_co_ci_u32_e32 v46, vcc_lo, v58, v46, vcc_lo
	v_mov_b32_e32 v63, v47
	v_mov_b32_e32 v47, v49
	global_store_b128 v[45:46], v[41:44], off
	v_mad_u64_u32 v[45:46], null, s4, v54, 0
	v_lshlrev_b64 v[41:42], 4, v[62:63]
	v_mad_u64_u32 v[43:44], null, s5, v52, v[47:48]
	v_dual_mov_b32 v44, v51 :: v_dual_add_nc_u32 v47, 0xbb, v0
	s_delay_alu instid0(VALU_DEP_3) | instskip(NEXT) | instid1(VALU_DEP_4)
	v_add_co_u32 v41, vcc_lo, v57, v41
	v_add_co_ci_u32_e32 v42, vcc_lo, v58, v42, vcc_lo
	s_delay_alu instid0(VALU_DEP_3) | instskip(NEXT) | instid1(VALU_DEP_4)
	v_mad_u64_u32 v[51:52], null, s5, v53, v[44:45]
	v_mad_u64_u32 v[52:53], null, s4, v47, 0
                                        ; kill: def $vgpr44 killed $sgpr0 killed $exec
	v_mov_b32_e32 v49, v43
	v_mov_b32_e32 v43, v46
	global_store_b128 v[41:42], v[37:40], off
	v_lshlrev_b64 v[41:42], 4, v[50:51]
	v_lshlrev_b64 v[37:38], 4, v[48:49]
	v_mad_u64_u32 v[39:40], null, s5, v54, v[43:44]
	v_mov_b32_e32 v40, v53
	s_delay_alu instid0(VALU_DEP_3) | instskip(NEXT) | instid1(VALU_DEP_2)
	v_add_co_u32 v37, vcc_lo, v57, v37
	v_mad_u64_u32 v[43:44], null, s5, v47, v[40:41]
	v_add_co_ci_u32_e32 v38, vcc_lo, v58, v38, vcc_lo
	v_mov_b32_e32 v46, v39
	v_add_nc_u32_e32 v44, 0xcc, v0
	global_store_b128 v[37:38], v[33:36], off
	v_mov_b32_e32 v53, v43
	v_lshlrev_b64 v[33:34], 4, v[45:46]
	v_add_co_u32 v35, vcc_lo, v57, v41
	v_mad_u64_u32 v[37:38], null, s4, v44, 0
	v_add_co_ci_u32_e32 v36, vcc_lo, v58, v42, vcc_lo
	s_delay_alu instid0(VALU_DEP_4)
	v_add_co_u32 v33, vcc_lo, v57, v33
	v_lshlrev_b64 v[39:40], 4, v[52:53]
	v_add_co_ci_u32_e32 v34, vcc_lo, v58, v34, vcc_lo
	s_clause 0x1
	global_store_b128 v[35:36], v[29:32], off
	global_store_b128 v[33:34], v[25:28], off
	v_dual_mov_b32 v25, v38 :: v_dual_add_nc_u32 v32, 0xdd, v0
	v_add_nc_u32_e32 v33, 0xee, v0
	v_add_co_u32 v26, vcc_lo, v57, v39
	v_add_co_ci_u32_e32 v27, vcc_lo, v58, v40, vcc_lo
	s_delay_alu instid0(VALU_DEP_2)
	v_mad_u64_u32 v[28:29], null, s5, v44, v[25:26]
	v_mad_u64_u32 v[29:30], null, s4, v32, 0
	v_add_nc_u32_e32 v34, 0xff, v0
	global_store_b128 v[26:27], v[21:24], off
	v_mad_u64_u32 v[21:22], null, s4, v33, 0
	v_dual_mov_b32 v38, v28 :: v_dual_mov_b32 v23, v30
	v_mad_u64_u32 v[24:25], null, s4, v34, 0
	s_delay_alu instid0(VALU_DEP_2) | instskip(NEXT) | instid1(VALU_DEP_2)
	v_lshlrev_b64 v[26:27], 4, v[37:38]
	v_mad_u64_u32 v[30:31], null, s5, v32, v[23:24]
	s_delay_alu instid0(VALU_DEP_3) | instskip(NEXT) | instid1(VALU_DEP_3)
	v_dual_mov_b32 v0, v25 :: v_dual_add_nc_u32 v23, 0x110, v0
	v_add_co_u32 v25, vcc_lo, v57, v26
	s_delay_alu instid0(VALU_DEP_4) | instskip(NEXT) | instid1(VALU_DEP_3)
	v_add_co_ci_u32_e32 v26, vcc_lo, v58, v27, vcc_lo
	v_mad_u64_u32 v[31:32], null, s5, v33, v[22:23]
	s_delay_alu instid0(VALU_DEP_4)
	v_mad_u64_u32 v[27:28], null, s5, v34, v[0:1]
	v_mad_u64_u32 v[32:33], null, s4, v23, 0
	global_store_b128 v[25:26], v[17:20], off
	v_lshlrev_b64 v[17:18], 4, v[29:30]
	v_mov_b32_e32 v22, v31
	v_dual_mov_b32 v25, v27 :: v_dual_mov_b32 v0, v33
	s_delay_alu instid0(VALU_DEP_3) | instskip(NEXT) | instid1(VALU_DEP_4)
	v_add_co_u32 v17, vcc_lo, v57, v17
	v_add_co_ci_u32_e32 v18, vcc_lo, v58, v18, vcc_lo
	s_delay_alu instid0(VALU_DEP_4) | instskip(NEXT) | instid1(VALU_DEP_4)
	v_lshlrev_b64 v[19:20], 4, v[21:22]
	v_mad_u64_u32 v[21:22], null, s5, v23, v[0:1]
	v_lshlrev_b64 v[22:23], 4, v[24:25]
	s_delay_alu instid0(VALU_DEP_3) | instskip(NEXT) | instid1(VALU_DEP_4)
	v_add_co_u32 v19, vcc_lo, v57, v19
	v_add_co_ci_u32_e32 v20, vcc_lo, v58, v20, vcc_lo
	s_delay_alu instid0(VALU_DEP_4) | instskip(NEXT) | instid1(VALU_DEP_4)
	v_mov_b32_e32 v33, v21
	v_add_co_u32 v21, vcc_lo, v57, v22
	v_add_co_ci_u32_e32 v22, vcc_lo, v58, v23, vcc_lo
	s_clause 0x2
	global_store_b128 v[17:18], v[13:16], off
	global_store_b128 v[19:20], v[9:12], off
	;; [unrolled: 1-line block ×3, first 2 shown]
	v_lshlrev_b64 v[24:25], 4, v[32:33]
	scratch_load_b128 v[0:3], off, off offset:28 ; 16-byte Folded Reload
	v_add_co_u32 v23, vcc_lo, v57, v24
	v_add_co_ci_u32_e32 v24, vcc_lo, v58, v25, vcc_lo
	s_waitcnt vmcnt(0)
	global_store_b128 v[23:24], v[0:3], off
.LBB0_16:
	s_endpgm
	.section	.rodata,"a",@progbits
	.p2align	6, 0x0
	.amdhsa_kernel fft_rtc_fwd_len289_factors_17_17_wgs_119_tpt_17_dp_ip_CI_sbcc_twdbase8_2step_dirReg
		.amdhsa_group_segment_fixed_size 0
		.amdhsa_private_segment_fixed_size 444
		.amdhsa_kernarg_size 96
		.amdhsa_user_sgpr_count 15
		.amdhsa_user_sgpr_dispatch_ptr 0
		.amdhsa_user_sgpr_queue_ptr 0
		.amdhsa_user_sgpr_kernarg_segment_ptr 1
		.amdhsa_user_sgpr_dispatch_id 0
		.amdhsa_user_sgpr_private_segment_size 0
		.amdhsa_wavefront_size32 1
		.amdhsa_uses_dynamic_stack 0
		.amdhsa_enable_private_segment 1
		.amdhsa_system_sgpr_workgroup_id_x 1
		.amdhsa_system_sgpr_workgroup_id_y 0
		.amdhsa_system_sgpr_workgroup_id_z 0
		.amdhsa_system_sgpr_workgroup_info 0
		.amdhsa_system_vgpr_workitem_id 0
		.amdhsa_next_free_vgpr 256
		.amdhsa_next_free_sgpr 63
		.amdhsa_reserve_vcc 1
		.amdhsa_float_round_mode_32 0
		.amdhsa_float_round_mode_16_64 0
		.amdhsa_float_denorm_mode_32 3
		.amdhsa_float_denorm_mode_16_64 3
		.amdhsa_dx10_clamp 1
		.amdhsa_ieee_mode 1
		.amdhsa_fp16_overflow 0
		.amdhsa_workgroup_processor_mode 1
		.amdhsa_memory_ordered 1
		.amdhsa_forward_progress 0
		.amdhsa_shared_vgpr_count 0
		.amdhsa_exception_fp_ieee_invalid_op 0
		.amdhsa_exception_fp_denorm_src 0
		.amdhsa_exception_fp_ieee_div_zero 0
		.amdhsa_exception_fp_ieee_overflow 0
		.amdhsa_exception_fp_ieee_underflow 0
		.amdhsa_exception_fp_ieee_inexact 0
		.amdhsa_exception_int_div_zero 0
	.end_amdhsa_kernel
	.text
.Lfunc_end0:
	.size	fft_rtc_fwd_len289_factors_17_17_wgs_119_tpt_17_dp_ip_CI_sbcc_twdbase8_2step_dirReg, .Lfunc_end0-fft_rtc_fwd_len289_factors_17_17_wgs_119_tpt_17_dp_ip_CI_sbcc_twdbase8_2step_dirReg
                                        ; -- End function
	.section	.AMDGPU.csdata,"",@progbits
; Kernel info:
; codeLenInByte = 21380
; NumSgprs: 65
; NumVgprs: 256
; ScratchSize: 444
; MemoryBound: 1
; FloatMode: 240
; IeeeMode: 1
; LDSByteSize: 0 bytes/workgroup (compile time only)
; SGPRBlocks: 8
; VGPRBlocks: 31
; NumSGPRsForWavesPerEU: 65
; NumVGPRsForWavesPerEU: 256
; Occupancy: 5
; WaveLimiterHint : 1
; COMPUTE_PGM_RSRC2:SCRATCH_EN: 1
; COMPUTE_PGM_RSRC2:USER_SGPR: 15
; COMPUTE_PGM_RSRC2:TRAP_HANDLER: 0
; COMPUTE_PGM_RSRC2:TGID_X_EN: 1
; COMPUTE_PGM_RSRC2:TGID_Y_EN: 0
; COMPUTE_PGM_RSRC2:TGID_Z_EN: 0
; COMPUTE_PGM_RSRC2:TIDIG_COMP_CNT: 0
	.text
	.p2alignl 7, 3214868480
	.fill 96, 4, 3214868480
	.type	__hip_cuid_46cedfbed70bc26,@object ; @__hip_cuid_46cedfbed70bc26
	.section	.bss,"aw",@nobits
	.globl	__hip_cuid_46cedfbed70bc26
__hip_cuid_46cedfbed70bc26:
	.byte	0                               ; 0x0
	.size	__hip_cuid_46cedfbed70bc26, 1

	.ident	"AMD clang version 19.0.0git (https://github.com/RadeonOpenCompute/llvm-project roc-6.4.0 25133 c7fe45cf4b819c5991fe208aaa96edf142730f1d)"
	.section	".note.GNU-stack","",@progbits
	.addrsig
	.addrsig_sym __hip_cuid_46cedfbed70bc26
	.amdgpu_metadata
---
amdhsa.kernels:
  - .args:
      - .actual_access:  read_only
        .address_space:  global
        .offset:         0
        .size:           8
        .value_kind:     global_buffer
      - .address_space:  global
        .offset:         8
        .size:           8
        .value_kind:     global_buffer
      - .offset:         16
        .size:           8
        .value_kind:     by_value
      - .actual_access:  read_only
        .address_space:  global
        .offset:         24
        .size:           8
        .value_kind:     global_buffer
      - .actual_access:  read_only
        .address_space:  global
        .offset:         32
        .size:           8
        .value_kind:     global_buffer
      - .offset:         40
        .size:           8
        .value_kind:     by_value
      - .actual_access:  read_only
        .address_space:  global
        .offset:         48
        .size:           8
        .value_kind:     global_buffer
      - .actual_access:  read_only
        .address_space:  global
        .offset:         56
        .size:           8
        .value_kind:     global_buffer
      - .offset:         64
        .size:           4
        .value_kind:     by_value
      - .actual_access:  read_only
        .address_space:  global
        .offset:         72
        .size:           8
        .value_kind:     global_buffer
      - .actual_access:  read_only
        .address_space:  global
        .offset:         80
        .size:           8
        .value_kind:     global_buffer
      - .address_space:  global
        .offset:         88
        .size:           8
        .value_kind:     global_buffer
    .group_segment_fixed_size: 0
    .kernarg_segment_align: 8
    .kernarg_segment_size: 96
    .language:       OpenCL C
    .language_version:
      - 2
      - 0
    .max_flat_workgroup_size: 119
    .name:           fft_rtc_fwd_len289_factors_17_17_wgs_119_tpt_17_dp_ip_CI_sbcc_twdbase8_2step_dirReg
    .private_segment_fixed_size: 444
    .sgpr_count:     65
    .sgpr_spill_count: 0
    .symbol:         fft_rtc_fwd_len289_factors_17_17_wgs_119_tpt_17_dp_ip_CI_sbcc_twdbase8_2step_dirReg.kd
    .uniform_work_group_size: 1
    .uses_dynamic_stack: false
    .vgpr_count:     256
    .vgpr_spill_count: 153
    .wavefront_size: 32
    .workgroup_processor_mode: 1
amdhsa.target:   amdgcn-amd-amdhsa--gfx1100
amdhsa.version:
  - 1
  - 2
...

	.end_amdgpu_metadata
